;; amdgpu-corpus repo=ROCm/rocFFT kind=compiled arch=gfx906 opt=O3
	.text
	.amdgcn_target "amdgcn-amd-amdhsa--gfx906"
	.amdhsa_code_object_version 6
	.protected	fft_rtc_back_len3240_factors_3_3_10_6_6_wgs_108_tpt_108_halfLds_half_op_CI_CI_unitstride_sbrr_dirReg ; -- Begin function fft_rtc_back_len3240_factors_3_3_10_6_6_wgs_108_tpt_108_halfLds_half_op_CI_CI_unitstride_sbrr_dirReg
	.globl	fft_rtc_back_len3240_factors_3_3_10_6_6_wgs_108_tpt_108_halfLds_half_op_CI_CI_unitstride_sbrr_dirReg
	.p2align	8
	.type	fft_rtc_back_len3240_factors_3_3_10_6_6_wgs_108_tpt_108_halfLds_half_op_CI_CI_unitstride_sbrr_dirReg,@function
fft_rtc_back_len3240_factors_3_3_10_6_6_wgs_108_tpt_108_halfLds_half_op_CI_CI_unitstride_sbrr_dirReg: ; @fft_rtc_back_len3240_factors_3_3_10_6_6_wgs_108_tpt_108_halfLds_half_op_CI_CI_unitstride_sbrr_dirReg
; %bb.0:
	s_load_dwordx4 s[8:11], s[4:5], 0x58
	s_load_dwordx4 s[12:15], s[4:5], 0x0
	;; [unrolled: 1-line block ×3, first 2 shown]
	v_mul_u32_u24_e32 v1, 0x25f, v0
	v_add_u32_sdwa v5, s6, v1 dst_sel:DWORD dst_unused:UNUSED_PAD src0_sel:DWORD src1_sel:WORD_1
	v_mov_b32_e32 v3, 0
	s_waitcnt lgkmcnt(0)
	v_cmp_lt_u64_e64 s[0:1], s[14:15], 2
	v_mov_b32_e32 v1, 0
	v_mov_b32_e32 v6, v3
	s_and_b64 vcc, exec, s[0:1]
	v_mov_b32_e32 v2, 0
	s_cbranch_vccnz .LBB0_8
; %bb.1:
	s_load_dwordx2 s[0:1], s[4:5], 0x10
	s_add_u32 s2, s18, 8
	s_addc_u32 s3, s19, 0
	s_add_u32 s6, s16, 8
	v_mov_b32_e32 v1, 0
	s_addc_u32 s7, s17, 0
	v_mov_b32_e32 v2, 0
	s_waitcnt lgkmcnt(0)
	s_add_u32 s20, s0, 8
	v_mov_b32_e32 v21, v2
	s_addc_u32 s21, s1, 0
	s_mov_b64 s[22:23], 1
	v_mov_b32_e32 v20, v1
.LBB0_2:                                ; =>This Inner Loop Header: Depth=1
	s_load_dwordx2 s[24:25], s[20:21], 0x0
                                        ; implicit-def: $vgpr22_vgpr23
	s_waitcnt lgkmcnt(0)
	v_or_b32_e32 v4, s25, v6
	v_cmp_ne_u64_e32 vcc, 0, v[3:4]
	s_and_saveexec_b64 s[0:1], vcc
	s_xor_b64 s[26:27], exec, s[0:1]
	s_cbranch_execz .LBB0_4
; %bb.3:                                ;   in Loop: Header=BB0_2 Depth=1
	v_cvt_f32_u32_e32 v4, s24
	v_cvt_f32_u32_e32 v7, s25
	s_sub_u32 s0, 0, s24
	s_subb_u32 s1, 0, s25
	v_mac_f32_e32 v4, 0x4f800000, v7
	v_rcp_f32_e32 v4, v4
	v_mul_f32_e32 v4, 0x5f7ffffc, v4
	v_mul_f32_e32 v7, 0x2f800000, v4
	v_trunc_f32_e32 v7, v7
	v_mac_f32_e32 v4, 0xcf800000, v7
	v_cvt_u32_f32_e32 v7, v7
	v_cvt_u32_f32_e32 v4, v4
	v_mul_lo_u32 v8, s0, v7
	v_mul_hi_u32 v9, s0, v4
	v_mul_lo_u32 v11, s1, v4
	v_mul_lo_u32 v10, s0, v4
	v_add_u32_e32 v8, v9, v8
	v_add_u32_e32 v8, v8, v11
	v_mul_hi_u32 v9, v4, v10
	v_mul_lo_u32 v11, v4, v8
	v_mul_hi_u32 v13, v4, v8
	v_mul_hi_u32 v12, v7, v10
	v_mul_lo_u32 v10, v7, v10
	v_mul_hi_u32 v14, v7, v8
	v_add_co_u32_e32 v9, vcc, v9, v11
	v_addc_co_u32_e32 v11, vcc, 0, v13, vcc
	v_mul_lo_u32 v8, v7, v8
	v_add_co_u32_e32 v9, vcc, v9, v10
	v_addc_co_u32_e32 v9, vcc, v11, v12, vcc
	v_addc_co_u32_e32 v10, vcc, 0, v14, vcc
	v_add_co_u32_e32 v8, vcc, v9, v8
	v_addc_co_u32_e32 v9, vcc, 0, v10, vcc
	v_add_co_u32_e32 v4, vcc, v4, v8
	v_addc_co_u32_e32 v7, vcc, v7, v9, vcc
	v_mul_lo_u32 v8, s0, v7
	v_mul_hi_u32 v9, s0, v4
	v_mul_lo_u32 v10, s1, v4
	v_mul_lo_u32 v11, s0, v4
	v_add_u32_e32 v8, v9, v8
	v_add_u32_e32 v8, v8, v10
	v_mul_lo_u32 v12, v4, v8
	v_mul_hi_u32 v13, v4, v11
	v_mul_hi_u32 v14, v4, v8
	v_mul_hi_u32 v10, v7, v11
	v_mul_lo_u32 v11, v7, v11
	v_mul_hi_u32 v9, v7, v8
	v_add_co_u32_e32 v12, vcc, v13, v12
	v_addc_co_u32_e32 v13, vcc, 0, v14, vcc
	v_mul_lo_u32 v8, v7, v8
	v_add_co_u32_e32 v11, vcc, v12, v11
	v_addc_co_u32_e32 v10, vcc, v13, v10, vcc
	v_addc_co_u32_e32 v9, vcc, 0, v9, vcc
	v_add_co_u32_e32 v8, vcc, v10, v8
	v_addc_co_u32_e32 v9, vcc, 0, v9, vcc
	v_add_co_u32_e32 v4, vcc, v4, v8
	v_addc_co_u32_e32 v9, vcc, v7, v9, vcc
	v_mad_u64_u32 v[7:8], s[0:1], v5, v9, 0
	v_mul_hi_u32 v10, v5, v4
	v_add_co_u32_e32 v11, vcc, v10, v7
	v_addc_co_u32_e32 v12, vcc, 0, v8, vcc
	v_mad_u64_u32 v[7:8], s[0:1], v6, v4, 0
	v_mad_u64_u32 v[9:10], s[0:1], v6, v9, 0
	v_add_co_u32_e32 v4, vcc, v11, v7
	v_addc_co_u32_e32 v4, vcc, v12, v8, vcc
	v_addc_co_u32_e32 v7, vcc, 0, v10, vcc
	v_add_co_u32_e32 v4, vcc, v4, v9
	v_addc_co_u32_e32 v9, vcc, 0, v7, vcc
	v_mul_lo_u32 v10, s25, v4
	v_mul_lo_u32 v11, s24, v9
	v_mad_u64_u32 v[7:8], s[0:1], s24, v4, 0
	v_add3_u32 v8, v8, v11, v10
	v_sub_u32_e32 v10, v6, v8
	v_mov_b32_e32 v11, s25
	v_sub_co_u32_e32 v7, vcc, v5, v7
	v_subb_co_u32_e64 v10, s[0:1], v10, v11, vcc
	v_subrev_co_u32_e64 v11, s[0:1], s24, v7
	v_subbrev_co_u32_e64 v10, s[0:1], 0, v10, s[0:1]
	v_cmp_le_u32_e64 s[0:1], s25, v10
	v_cndmask_b32_e64 v12, 0, -1, s[0:1]
	v_cmp_le_u32_e64 s[0:1], s24, v11
	v_cndmask_b32_e64 v11, 0, -1, s[0:1]
	v_cmp_eq_u32_e64 s[0:1], s25, v10
	v_cndmask_b32_e64 v10, v12, v11, s[0:1]
	v_add_co_u32_e64 v11, s[0:1], 2, v4
	v_addc_co_u32_e64 v12, s[0:1], 0, v9, s[0:1]
	v_add_co_u32_e64 v13, s[0:1], 1, v4
	v_addc_co_u32_e64 v14, s[0:1], 0, v9, s[0:1]
	v_subb_co_u32_e32 v8, vcc, v6, v8, vcc
	v_cmp_ne_u32_e64 s[0:1], 0, v10
	v_cmp_le_u32_e32 vcc, s25, v8
	v_cndmask_b32_e64 v10, v14, v12, s[0:1]
	v_cndmask_b32_e64 v12, 0, -1, vcc
	v_cmp_le_u32_e32 vcc, s24, v7
	v_cndmask_b32_e64 v7, 0, -1, vcc
	v_cmp_eq_u32_e32 vcc, s25, v8
	v_cndmask_b32_e32 v7, v12, v7, vcc
	v_cmp_ne_u32_e32 vcc, 0, v7
	v_cndmask_b32_e64 v7, v13, v11, s[0:1]
	v_cndmask_b32_e32 v23, v9, v10, vcc
	v_cndmask_b32_e32 v22, v4, v7, vcc
.LBB0_4:                                ;   in Loop: Header=BB0_2 Depth=1
	s_andn2_saveexec_b64 s[0:1], s[26:27]
	s_cbranch_execz .LBB0_6
; %bb.5:                                ;   in Loop: Header=BB0_2 Depth=1
	v_cvt_f32_u32_e32 v4, s24
	s_sub_i32 s26, 0, s24
	v_mov_b32_e32 v23, v3
	v_rcp_iflag_f32_e32 v4, v4
	v_mul_f32_e32 v4, 0x4f7ffffe, v4
	v_cvt_u32_f32_e32 v4, v4
	v_mul_lo_u32 v7, s26, v4
	v_mul_hi_u32 v7, v4, v7
	v_add_u32_e32 v4, v4, v7
	v_mul_hi_u32 v4, v5, v4
	v_mul_lo_u32 v7, v4, s24
	v_add_u32_e32 v8, 1, v4
	v_sub_u32_e32 v7, v5, v7
	v_subrev_u32_e32 v9, s24, v7
	v_cmp_le_u32_e32 vcc, s24, v7
	v_cndmask_b32_e32 v7, v7, v9, vcc
	v_cndmask_b32_e32 v4, v4, v8, vcc
	v_add_u32_e32 v8, 1, v4
	v_cmp_le_u32_e32 vcc, s24, v7
	v_cndmask_b32_e32 v22, v4, v8, vcc
.LBB0_6:                                ;   in Loop: Header=BB0_2 Depth=1
	s_or_b64 exec, exec, s[0:1]
	v_mul_lo_u32 v4, v23, s24
	v_mul_lo_u32 v9, v22, s25
	v_mad_u64_u32 v[7:8], s[0:1], v22, s24, 0
	s_load_dwordx2 s[0:1], s[6:7], 0x0
	s_load_dwordx2 s[24:25], s[2:3], 0x0
	v_add3_u32 v4, v8, v9, v4
	v_sub_co_u32_e32 v5, vcc, v5, v7
	v_subb_co_u32_e32 v4, vcc, v6, v4, vcc
	s_waitcnt lgkmcnt(0)
	v_mul_lo_u32 v6, s0, v4
	v_mul_lo_u32 v7, s1, v5
	v_mad_u64_u32 v[1:2], s[0:1], s0, v5, v[1:2]
	v_mul_lo_u32 v4, s24, v4
	v_mul_lo_u32 v8, s25, v5
	v_mad_u64_u32 v[20:21], s[0:1], s24, v5, v[20:21]
	s_add_u32 s22, s22, 1
	s_addc_u32 s23, s23, 0
	s_add_u32 s2, s2, 8
	v_add3_u32 v21, v8, v21, v4
	s_addc_u32 s3, s3, 0
	v_mov_b32_e32 v4, s14
	s_add_u32 s6, s6, 8
	v_mov_b32_e32 v5, s15
	s_addc_u32 s7, s7, 0
	v_cmp_ge_u64_e32 vcc, s[22:23], v[4:5]
	s_add_u32 s20, s20, 8
	v_add3_u32 v2, v7, v2, v6
	s_addc_u32 s21, s21, 0
	s_cbranch_vccnz .LBB0_9
; %bb.7:                                ;   in Loop: Header=BB0_2 Depth=1
	v_mov_b32_e32 v5, v22
	v_mov_b32_e32 v6, v23
	s_branch .LBB0_2
.LBB0_8:
	v_mov_b32_e32 v21, v2
	v_mov_b32_e32 v23, v6
	;; [unrolled: 1-line block ×4, first 2 shown]
.LBB0_9:
	s_load_dwordx2 s[4:5], s[4:5], 0x28
	s_lshl_b64 s[6:7], s[14:15], 3
	s_add_u32 s2, s18, s6
	s_addc_u32 s3, s19, s7
                                        ; implicit-def: $vgpr24
	s_waitcnt lgkmcnt(0)
	v_cmp_gt_u64_e64 s[0:1], s[4:5], v[22:23]
	v_cmp_le_u64_e32 vcc, s[4:5], v[22:23]
	s_and_saveexec_b64 s[4:5], vcc
	s_xor_b64 s[4:5], exec, s[4:5]
; %bb.10:
	s_mov_b32 s14, 0x25ed098
	v_mul_hi_u32 v1, v0, s14
	v_mul_u32_u24_e32 v1, 0x6c, v1
	v_sub_u32_e32 v24, v0, v1
                                        ; implicit-def: $vgpr0
                                        ; implicit-def: $vgpr1_vgpr2
; %bb.11:
	s_or_saveexec_b64 s[4:5], s[4:5]
                                        ; implicit-def: $vgpr17
                                        ; implicit-def: $vgpr7
                                        ; implicit-def: $vgpr18
                                        ; implicit-def: $vgpr3
                                        ; implicit-def: $vgpr19
                                        ; implicit-def: $vgpr6
                                        ; implicit-def: $vgpr30
                                        ; implicit-def: $vgpr8
                                        ; implicit-def: $vgpr31
                                        ; implicit-def: $vgpr5
                                        ; implicit-def: $vgpr25
                                        ; implicit-def: $vgpr4
                                        ; implicit-def: $vgpr37
                                        ; implicit-def: $vgpr12
                                        ; implicit-def: $vgpr38
                                        ; implicit-def: $vgpr11
                                        ; implicit-def: $vgpr34
                                        ; implicit-def: $vgpr9
                                        ; implicit-def: $vgpr43
                                        ; implicit-def: $vgpr27
                                        ; implicit-def: $vgpr44
                                        ; implicit-def: $vgpr16
                                        ; implicit-def: $vgpr40
                                        ; implicit-def: $vgpr10
                                        ; implicit-def: $vgpr48
                                        ; implicit-def: $vgpr35
                                        ; implicit-def: $vgpr49
                                        ; implicit-def: $vgpr32
                                        ; implicit-def: $vgpr46
                                        ; implicit-def: $vgpr13
                                        ; implicit-def: $vgpr52
                                        ; implicit-def: $vgpr41
                                        ; implicit-def: $vgpr53
                                        ; implicit-def: $vgpr39
                                        ; implicit-def: $vgpr51
                                        ; implicit-def: $vgpr14
                                        ; implicit-def: $vgpr56
                                        ; implicit-def: $vgpr15
                                        ; implicit-def: $vgpr57
                                        ; implicit-def: $vgpr45
                                        ; implicit-def: $vgpr55
                                        ; implicit-def: $vgpr28
                                        ; implicit-def: $vgpr60
                                        ; implicit-def: $vgpr26
                                        ; implicit-def: $vgpr61
                                        ; implicit-def: $vgpr50
                                        ; implicit-def: $vgpr59
                                        ; implicit-def: $vgpr36
                                        ; implicit-def: $vgpr63
                                        ; implicit-def: $vgpr29
                                        ; implicit-def: $vgpr64
                                        ; implicit-def: $vgpr54
                                        ; implicit-def: $vgpr62
                                        ; implicit-def: $vgpr42
                                        ; implicit-def: $vgpr66
                                        ; implicit-def: $vgpr33
                                        ; implicit-def: $vgpr67
                                        ; implicit-def: $vgpr58
                                        ; implicit-def: $vgpr65
                                        ; implicit-def: $vgpr47
	s_xor_b64 exec, exec, s[4:5]
	s_cbranch_execz .LBB0_13
; %bb.12:
	s_add_u32 s6, s16, s6
	s_addc_u32 s7, s17, s7
	s_load_dwordx2 s[6:7], s[6:7], 0x0
	s_mov_b32 s14, 0x25ed098
	v_mul_hi_u32 v5, v0, s14
	s_waitcnt lgkmcnt(0)
	v_mul_lo_u32 v6, s7, v22
	v_mul_lo_u32 v7, s6, v23
	v_mad_u64_u32 v[3:4], s[6:7], s6, v22, 0
	v_mul_u32_u24_e32 v5, 0x6c, v5
	v_sub_u32_e32 v24, v0, v5
	v_add3_u32 v4, v4, v7, v6
	v_lshlrev_b64 v[3:4], 2, v[3:4]
	v_mov_b32_e32 v0, s9
	v_add_co_u32_e32 v3, vcc, s8, v3
	v_addc_co_u32_e32 v4, vcc, v0, v4, vcc
	v_lshlrev_b64 v[0:1], 2, v[1:2]
	v_lshlrev_b32_e32 v2, 2, v24
	v_add_co_u32_e32 v0, vcc, v3, v0
	v_addc_co_u32_e32 v1, vcc, v4, v1, vcc
	v_add_co_u32_e32 v0, vcc, v0, v2
	v_addc_co_u32_e32 v1, vcc, 0, v1, vcc
	s_movk_i32 s6, 0x1000
	v_add_co_u32_e32 v17, vcc, s6, v0
	v_addc_co_u32_e32 v18, vcc, 0, v1, vcc
	s_movk_i32 s6, 0x2000
	v_add_co_u32_e32 v30, vcc, s6, v0
	v_addc_co_u32_e32 v31, vcc, 0, v1, vcc
	global_load_dword v33, v[30:31], off offset:448
	global_load_dword v29, v[30:31], off offset:880
	;; [unrolled: 1-line block ×4, first 2 shown]
	global_load_dword v47, v[0:1], off
	global_load_dword v42, v[0:1], off offset:432
	global_load_dword v36, v[0:1], off offset:864
	;; [unrolled: 1-line block ×24, first 2 shown]
	v_add_co_u32_e32 v0, vcc, 0x3000, v0
	v_addc_co_u32_e32 v1, vcc, 0, v1, vcc
	global_load_dword v7, v[0:1], off offset:240
	s_waitcnt vmcnt(29)
	v_lshrrev_b32_e32 v66, 16, v33
	s_waitcnt vmcnt(28)
	v_lshrrev_b32_e32 v63, 16, v29
	;; [unrolled: 2-line block ×30, first 2 shown]
.LBB0_13:
	s_or_b64 exec, exec, s[4:5]
	v_add_f16_e32 v1, v33, v58
	v_fma_f16 v1, v1, -0.5, v47
	v_sub_f16_e32 v2, v67, v66
	s_mov_b32 s4, 0xbaee
	s_movk_i32 s5, 0x3aee
	v_add_f16_e32 v0, v58, v47
	v_fma_f16 v47, v2, s4, v1
	v_fma_f16 v1, v2, s5, v1
	v_add_f16_e32 v2, v67, v65
	v_add_f16_e32 v68, v66, v2
	;; [unrolled: 1-line block ×4, first 2 shown]
	v_fma_f16 v2, v2, -0.5, v65
	v_sub_f16_e32 v33, v58, v33
	v_fma_f16 v58, v33, s5, v2
	v_fma_f16 v65, v33, s4, v2
	v_add_f16_e32 v33, v29, v54
	v_add_f16_e32 v2, v54, v42
	v_fma_f16 v33, v33, -0.5, v42
	v_sub_f16_e32 v42, v64, v63
	v_fma_f16 v66, v42, s4, v33
	v_fma_f16 v33, v42, s5, v33
	v_add_f16_e32 v42, v64, v62
	v_add_f16_e32 v67, v63, v42
	;; [unrolled: 1-line block ×4, first 2 shown]
	v_fma_f16 v42, v42, -0.5, v62
	v_sub_f16_e32 v29, v54, v29
	v_add_f16_e32 v62, v26, v50
	v_fma_f16 v54, v29, s5, v42
	v_fma_f16 v29, v29, s4, v42
	v_add_f16_e32 v42, v50, v36
	v_fma_f16 v36, v62, -0.5, v36
	v_sub_f16_e32 v62, v61, v60
	v_fma_f16 v63, v62, s4, v36
	v_fma_f16 v36, v62, s5, v36
	v_add_f16_e32 v62, v61, v59
	v_add_f16_e32 v62, v60, v62
	;; [unrolled: 1-line block ×4, first 2 shown]
	v_fma_f16 v59, v60, -0.5, v59
	v_sub_f16_e32 v26, v50, v26
	v_add_f16_e32 v60, v15, v45
	v_fma_f16 v50, v26, s5, v59
	v_fma_f16 v26, v26, s4, v59
	v_add_f16_e32 v59, v45, v28
	v_fma_f16 v28, v60, -0.5, v28
	v_sub_f16_e32 v60, v57, v56
	v_fma_f16 v61, v60, s4, v28
	v_fma_f16 v28, v60, s5, v28
	v_add_f16_e32 v60, v57, v55
	v_add_f16_e32 v60, v56, v60
	;; [unrolled: 1-line block ×4, first 2 shown]
	v_fma_f16 v55, v56, -0.5, v55
	v_sub_f16_e32 v15, v45, v15
	v_fma_f16 v45, v15, s5, v55
	v_fma_f16 v56, v15, s4, v55
	v_add_f16_e32 v55, v41, v39
	v_add_f16_e32 v15, v39, v14
	v_fma_f16 v14, v55, -0.5, v14
	v_sub_f16_e32 v55, v53, v52
	v_fma_f16 v57, v55, s4, v14
	v_fma_f16 v14, v55, s5, v14
	v_add_f16_e32 v55, v53, v51
	v_add_f16_e32 v64, v52, v55
	v_add_f16_e32 v52, v52, v53
	v_fma_f16 v51, v52, -0.5, v51
	v_sub_f16_e32 v39, v39, v41
	v_fma_f16 v53, v39, s5, v51
	v_fma_f16 v39, v39, s4, v51
	v_add_f16_e32 v51, v35, v32
	;; [unrolled: 7-line block ×3, first 2 shown]
	v_add_f16_e32 v51, v48, v51
	v_add_f16_e32 v48, v48, v49
	v_fma_f16 v46, v48, -0.5, v46
	v_sub_f16_e32 v32, v32, v35
	v_add_f16_e32 v48, v27, v16
	v_add_f16_e32 v41, v35, v41
	v_fma_f16 v35, v32, s5, v46
	v_fma_f16 v32, v32, s4, v46
	v_add_f16_e32 v46, v16, v10
	v_fma_f16 v10, v48, -0.5, v10
	v_sub_f16_e32 v48, v44, v43
	v_fma_f16 v49, v48, s4, v10
	v_fma_f16 v10, v48, s5, v10
	v_add_f16_e32 v48, v44, v40
	v_add_f16_e32 v69, v43, v48
	;; [unrolled: 1-line block ×4, first 2 shown]
	v_fma_f16 v40, v43, -0.5, v40
	v_sub_f16_e32 v16, v16, v27
	v_add_f16_e32 v27, v12, v11
	v_fma_f16 v44, v16, s5, v40
	v_fma_f16 v40, v16, s4, v40
	v_add_f16_e32 v16, v11, v9
	v_fma_f16 v9, v27, -0.5, v9
	v_sub_f16_e32 v27, v38, v37
	v_fma_f16 v43, v27, s4, v9
	v_fma_f16 v9, v27, s5, v9
	v_add_f16_e32 v27, v38, v34
	v_add_f16_e32 v70, v37, v27
	v_add_f16_e32 v27, v37, v38
	v_fma_f16 v27, v27, -0.5, v34
	v_sub_f16_e32 v11, v11, v12
	v_fma_f16 v71, v11, s5, v27
	v_fma_f16 v11, v11, s4, v27
	v_add_f16_e32 v27, v8, v5
	v_add_f16_e32 v16, v12, v16
	;; [unrolled: 7-line block ×3, first 2 shown]
	v_add_f16_e32 v27, v30, v31
	v_add_f16_e32 v12, v8, v12
	v_fma_f16 v25, v27, -0.5, v25
	v_sub_f16_e32 v5, v5, v8
	v_add_f16_e32 v8, v7, v3
	v_fma_f16 v30, v5, s5, v25
	v_fma_f16 v31, v5, s4, v25
	v_add_f16_e32 v5, v3, v6
	v_fma_f16 v6, v8, -0.5, v6
	v_sub_f16_e32 v8, v18, v17
	v_fma_f16 v25, v8, s4, v6
	v_fma_f16 v6, v8, s5, v6
	v_add_f16_e32 v8, v18, v19
	v_add_f16_e32 v73, v17, v8
	;; [unrolled: 1-line block ×3, first 2 shown]
	v_mad_u32_u24 v75, v24, 6, 0
	s_load_dwordx2 s[2:3], s[2:3], 0x0
	v_add_f16_e32 v5, v7, v5
	v_fma_f16 v8, v8, -0.5, v19
	v_sub_f16_e32 v3, v3, v7
	ds_write_b16 v75, v0
	ds_write_b16 v75, v47 offset:2
	ds_write_b16 v75, v1 offset:4
	;; [unrolled: 1-line block ×29, first 2 shown]
	v_lshl_add_u32 v25, v24, 1, 0
	s_movk_i32 s6, 0xab
	v_fma_f16 v18, v3, s5, v8
	v_fma_f16 v74, v3, s4, v8
	s_waitcnt lgkmcnt(0)
	s_barrier
	ds_read_u16 v36, v25 offset:4752
	ds_read_u16 v33, v25 offset:4968
	ds_read_u16 v42, v25 offset:2592
	ds_read_u16 v38, v25 offset:2808
	ds_read_u16 v34, v25 offset:3024
	ds_read_u16 v15, v25 offset:3240
	ds_read_u16 v9, v25
	ds_read_u16 v8, v25 offset:216
	ds_read_u16 v7, v25 offset:432
	;; [unrolled: 1-line block ×23, first 2 shown]
	s_waitcnt lgkmcnt(0)
	s_barrier
	ds_write_b16 v75, v68
	ds_write_b16 v75, v58 offset:2
	ds_write_b16 v75, v65 offset:4
	;; [unrolled: 1-line block ×29, first 2 shown]
	v_mul_lo_u16_sdwa v11, v24, s6 dst_sel:DWORD dst_unused:UNUSED_PAD src0_sel:BYTE_0 src1_sel:DWORD
	v_lshrrev_b16_e32 v11, 9, v11
	v_mul_lo_u16_e32 v14, 3, v11
	v_sub_u16_e32 v14, v24, v14
	v_mov_b32_e32 v26, 3
	v_lshlrev_b32_sdwa v18, v26, v14 dst_sel:DWORD dst_unused:UNUSED_PAD src0_sel:DWORD src1_sel:BYTE_0
	s_waitcnt lgkmcnt(0)
	s_barrier
	global_load_dwordx2 v[56:57], v18, s[12:13]
	v_add_u16_e32 v30, 0x6c, v24
	v_mul_lo_u16_sdwa v18, v30, s6 dst_sel:DWORD dst_unused:UNUSED_PAD src0_sel:BYTE_0 src1_sel:DWORD
	v_lshrrev_b16_e32 v18, 9, v18
	v_mul_lo_u16_e32 v28, 3, v18
	v_sub_u16_e32 v31, v30, v28
	v_lshlrev_b32_sdwa v26, v26, v31 dst_sel:DWORD dst_unused:UNUSED_PAD src0_sel:DWORD src1_sel:BYTE_0
	v_add_u32_e32 v29, 0xd8, v24
	s_mov_b32 s6, 0xaaab
	global_load_dwordx2 v[58:59], v26, s[12:13]
	v_mul_u32_u24_sdwa v26, v29, s6 dst_sel:DWORD dst_unused:UNUSED_PAD src0_sel:WORD_0 src1_sel:DWORD
	v_lshrrev_b32_e32 v32, 17, v26
	v_mul_lo_u16_e32 v26, 3, v32
	v_sub_u16_e32 v35, v29, v26
	v_lshlrev_b32_e32 v26, 3, v35
	v_add_u32_e32 v28, 0x144, v24
	global_load_dwordx2 v[60:61], v26, s[12:13]
	v_mul_u32_u24_sdwa v26, v28, s6 dst_sel:DWORD dst_unused:UNUSED_PAD src0_sel:WORD_0 src1_sel:DWORD
	v_lshrrev_b32_e32 v39, 17, v26
	v_mul_lo_u16_e32 v26, 3, v39
	v_sub_u16_e32 v40, v28, v26
	v_lshlrev_b32_e32 v26, 3, v40
	global_load_dwordx2 v[62:63], v26, s[12:13]
	v_add_u32_e32 v26, 0x1b0, v24
	v_mul_u32_u24_sdwa v44, v26, s6 dst_sel:DWORD dst_unused:UNUSED_PAD src0_sel:WORD_0 src1_sel:DWORD
	v_lshrrev_b32_e32 v44, 17, v44
	v_mul_lo_u16_e32 v45, 3, v44
	v_add_u32_e32 v50, 0x21c, v24
	v_sub_u16_e32 v45, v26, v45
	v_mul_u32_u24_sdwa v46, v50, s6 dst_sel:DWORD dst_unused:UNUSED_PAD src0_sel:WORD_0 src1_sel:DWORD
	v_lshlrev_b32_e32 v47, 3, v45
	v_lshrrev_b32_e32 v46, 17, v46
	global_load_dwordx2 v[64:65], v47, s[12:13]
	v_mul_lo_u16_e32 v47, 3, v46
	v_add_u32_e32 v51, 0x288, v24
	v_sub_u16_e32 v47, v50, v47
	v_mul_u32_u24_sdwa v50, v51, s6 dst_sel:DWORD dst_unused:UNUSED_PAD src0_sel:WORD_0 src1_sel:DWORD
	v_lshrrev_b32_e32 v50, 17, v50
	v_mul_lo_u16_e32 v53, 3, v50
	v_add_u32_e32 v68, 0x2f4, v24
	v_sub_u16_e32 v51, v51, v53
	v_mul_u32_u24_sdwa v53, v68, s6 dst_sel:DWORD dst_unused:UNUSED_PAD src0_sel:WORD_0 src1_sel:DWORD
	v_lshlrev_b32_e32 v54, 3, v47
	v_lshrrev_b32_e32 v53, 17, v53
	v_mul_lo_u16_e32 v69, 3, v53
	global_load_dwordx2 v[66:67], v54, s[12:13]
	v_lshlrev_b32_e32 v72, 3, v51
	v_sub_u16_e32 v54, v68, v69
	v_lshlrev_b32_e32 v73, 3, v54
	global_load_dwordx2 v[68:69], v72, s[12:13]
	global_load_dwordx2 v[70:71], v73, s[12:13]
	ds_read_u16 v76, v25 offset:4752
	ds_read_u16 v77, v25 offset:4968
	;; [unrolled: 1-line block ×11, first 2 shown]
	v_add_u32_e32 v74, 0x3cc, v24
	v_mul_u32_u24_sdwa v75, v74, s6 dst_sel:DWORD dst_unused:UNUSED_PAD src0_sel:WORD_0 src1_sel:DWORD
	v_lshrrev_b32_e32 v90, 17, v75
	v_mul_lo_u16_e32 v75, 3, v90
	v_sub_u16_e32 v91, v74, v75
	v_lshlrev_b32_e32 v74, 3, v91
	global_load_dwordx2 v[74:75], v74, s[12:13]
	v_mul_u32_u24_e32 v11, 18, v11
	v_mul_u32_u24_e32 v18, 18, v18
	s_mov_b32 s14, 0xbb9c
	s_movk_i32 s7, 0x3b9c
	s_mov_b32 s9, 0xb8b4
	s_movk_i32 s8, 0x34f2
	s_movk_i32 s17, 0x3a79
	s_mov_b32 s16, 0xb4f2
	s_mov_b32 s15, 0xba79
	s_waitcnt vmcnt(8) lgkmcnt(6)
	v_mul_f16_sdwa v72, v80, v56 dst_sel:DWORD dst_unused:UNUSED_PAD src0_sel:DWORD src1_sel:WORD_1
	v_fma_f16 v87, v55, v56, v72
	v_add_u32_e32 v72, 0x360, v24
	v_mul_u32_u24_sdwa v73, v72, s6 dst_sel:DWORD dst_unused:UNUSED_PAD src0_sel:WORD_0 src1_sel:DWORD
	v_lshrrev_b32_e32 v88, 17, v73
	v_mul_lo_u16_e32 v73, 3, v88
	v_sub_u16_e32 v89, v72, v73
	v_lshlrev_b32_e32 v72, 3, v89
	global_load_dwordx2 v[72:73], v72, s[12:13]
	v_mul_f16_sdwa v94, v79, v57 dst_sel:DWORD dst_unused:UNUSED_PAD src0_sel:DWORD src1_sel:WORD_1
	v_fma_f16 v94, v52, v57, v94
	v_mul_f16_sdwa v52, v52, v57 dst_sel:DWORD dst_unused:UNUSED_PAD src0_sel:DWORD src1_sel:WORD_1
	v_fma_f16 v52, v79, v57, -v52
	s_waitcnt vmcnt(8) lgkmcnt(5)
	v_mul_f16_sdwa v57, v81, v58 dst_sel:DWORD dst_unused:UNUSED_PAD src0_sel:DWORD src1_sel:WORD_1
	v_fma_f16 v79, v48, v58, v57
	v_mul_f16_sdwa v48, v48, v58 dst_sel:DWORD dst_unused:UNUSED_PAD src0_sel:DWORD src1_sel:WORD_1
	v_fma_f16 v81, v81, v58, -v48
	v_mul_f16_sdwa v48, v78, v59 dst_sel:DWORD dst_unused:UNUSED_PAD src0_sel:DWORD src1_sel:WORD_1
	v_fma_f16 v95, v49, v59, v48
	v_mul_f16_sdwa v48, v49, v59 dst_sel:DWORD dst_unused:UNUSED_PAD src0_sel:DWORD src1_sel:WORD_1
	v_fma_f16 v78, v78, v59, -v48
	s_waitcnt vmcnt(7) lgkmcnt(4)
	v_mul_f16_sdwa v48, v82, v60 dst_sel:DWORD dst_unused:UNUSED_PAD src0_sel:DWORD src1_sel:WORD_1
	v_fma_f16 v96, v42, v60, v48
	v_mul_f16_sdwa v42, v42, v60 dst_sel:DWORD dst_unused:UNUSED_PAD src0_sel:DWORD src1_sel:WORD_1
	v_fma_f16 v82, v82, v60, -v42
	;; [unrolled: 9-line block ×3, first 2 shown]
	v_mul_f16_sdwa v36, v77, v63 dst_sel:DWORD dst_unused:UNUSED_PAD src0_sel:DWORD src1_sel:WORD_1
	v_fma_f16 v83, v33, v63, v36
	v_mul_f16_sdwa v33, v33, v63 dst_sel:DWORD dst_unused:UNUSED_PAD src0_sel:DWORD src1_sel:WORD_1
	v_fma_f16 v77, v77, v63, -v33
	s_waitcnt vmcnt(5) lgkmcnt(2)
	v_mul_f16_sdwa v33, v84, v64 dst_sel:DWORD dst_unused:UNUSED_PAD src0_sel:DWORD src1_sel:WORD_1
	v_mul_f16_sdwa v55, v55, v56 dst_sel:DWORD dst_unused:UNUSED_PAD src0_sel:DWORD src1_sel:WORD_1
	v_fma_f16 v99, v34, v64, v33
	v_mul_f16_sdwa v33, v34, v64 dst_sel:DWORD dst_unused:UNUSED_PAD src0_sel:DWORD src1_sel:WORD_1
	v_fma_f16 v55, v80, v56, -v55
	ds_read_u16 v56, v25 offset:3456
	ds_read_u16 v80, v25 offset:3672
	;; [unrolled: 1-line block ×4, first 2 shown]
	v_fma_f16 v34, v84, v64, -v33
	ds_read_u16 v33, v25 offset:5184
	ds_read_u16 v36, v25 offset:5400
	;; [unrolled: 1-line block ×6, first 2 shown]
	s_waitcnt lgkmcnt(5)
	v_mul_f16_sdwa v58, v33, v65 dst_sel:DWORD dst_unused:UNUSED_PAD src0_sel:DWORD src1_sel:WORD_1
	v_fma_f16 v84, v43, v65, v58
	v_mul_f16_sdwa v43, v43, v65 dst_sel:DWORD dst_unused:UNUSED_PAD src0_sel:DWORD src1_sel:WORD_1
	v_fma_f16 v100, v33, v65, -v43
	s_waitcnt vmcnt(4)
	v_mul_f16_sdwa v33, v85, v66 dst_sel:DWORD dst_unused:UNUSED_PAD src0_sel:DWORD src1_sel:WORD_1
	v_fma_f16 v101, v15, v66, v33
	v_mul_f16_sdwa v15, v15, v66 dst_sel:DWORD dst_unused:UNUSED_PAD src0_sel:DWORD src1_sel:WORD_1
	s_waitcnt lgkmcnt(4)
	v_mul_f16_sdwa v33, v36, v67 dst_sel:DWORD dst_unused:UNUSED_PAD src0_sel:DWORD src1_sel:WORD_1
	v_fma_f16 v15, v85, v66, -v15
	v_fma_f16 v85, v41, v67, v33
	v_mul_f16_sdwa v33, v41, v67 dst_sel:DWORD dst_unused:UNUSED_PAD src0_sel:DWORD src1_sel:WORD_1
	v_fma_f16 v67, v36, v67, -v33
	s_waitcnt vmcnt(3)
	v_mul_f16_sdwa v33, v56, v68 dst_sel:DWORD dst_unused:UNUSED_PAD src0_sel:DWORD src1_sel:WORD_1
	v_fma_f16 v102, v19, v68, v33
	v_mul_f16_sdwa v19, v19, v68 dst_sel:DWORD dst_unused:UNUSED_PAD src0_sel:DWORD src1_sel:WORD_1
	s_waitcnt lgkmcnt(3)
	v_mul_f16_sdwa v33, v42, v69 dst_sel:DWORD dst_unused:UNUSED_PAD src0_sel:DWORD src1_sel:WORD_1
	v_fma_f16 v19, v56, v68, -v19
	;; [unrolled: 10-line block ×3, first 2 shown]
	v_fma_f16 v70, v27, v71, v33
	v_mul_f16_sdwa v27, v27, v71 dst_sel:DWORD dst_unused:UNUSED_PAD src0_sel:DWORD src1_sel:WORD_1
	v_fma_f16 v71, v48, v71, -v27
	v_sub_f16_e32 v33, v55, v52
	v_sub_f16_e32 v43, v82, v76
	;; [unrolled: 1-line block ×4, first 2 shown]
	s_mov_b32 s6, 0xe38f
	s_waitcnt vmcnt(0)
	v_mul_f16_sdwa v27, v92, v72 dst_sel:DWORD dst_unused:UNUSED_PAD src0_sel:DWORD src1_sel:WORD_1
	v_fma_f16 v80, v12, v72, v27
	v_mul_f16_sdwa v12, v12, v72 dst_sel:DWORD dst_unused:UNUSED_PAD src0_sel:DWORD src1_sel:WORD_1
	s_waitcnt lgkmcnt(1)
	v_mul_f16_sdwa v27, v49, v73 dst_sel:DWORD dst_unused:UNUSED_PAD src0_sel:DWORD src1_sel:WORD_1
	v_fma_f16 v12, v92, v72, -v12
	v_fma_f16 v72, v17, v73, v27
	v_mul_f16_sdwa v17, v17, v73 dst_sel:DWORD dst_unused:UNUSED_PAD src0_sel:DWORD src1_sel:WORD_1
	v_mul_f16_sdwa v27, v93, v74 dst_sel:DWORD dst_unused:UNUSED_PAD src0_sel:DWORD src1_sel:WORD_1
	v_fma_f16 v17, v49, v73, -v17
	v_fma_f16 v73, v10, v74, v27
	v_mul_f16_sdwa v10, v10, v74 dst_sel:DWORD dst_unused:UNUSED_PAD src0_sel:DWORD src1_sel:WORD_1
	s_waitcnt lgkmcnt(0)
	v_mul_f16_sdwa v27, v57, v75 dst_sel:DWORD dst_unused:UNUSED_PAD src0_sel:DWORD src1_sel:WORD_1
	v_fma_f16 v10, v93, v74, -v10
	v_fma_f16 v74, v13, v75, v27
	v_add_f16_e32 v27, v87, v94
	v_mul_f16_sdwa v13, v13, v75 dst_sel:DWORD dst_unused:UNUSED_PAD src0_sel:DWORD src1_sel:WORD_1
	v_fma_f16 v27, v27, -0.5, v9
	v_fma_f16 v13, v57, v75, -v13
	v_fma_f16 v36, v33, s4, v27
	v_fma_f16 v33, v33, s5, v27
	ds_read_u16 v27, v25
	ds_read_u16 v75, v25 offset:216
	ds_read_u16 v92, v25 offset:432
	;; [unrolled: 1-line block ×7, first 2 shown]
	s_waitcnt lgkmcnt(7)
	v_add_f16_e32 v41, v27, v55
	v_add_f16_e32 v107, v41, v52
	;; [unrolled: 1-line block ×3, first 2 shown]
	v_fma_f16 v27, v41, -0.5, v27
	v_add_f16_e32 v9, v9, v87
	v_sub_f16_e32 v41, v87, v94
	v_add_f16_e32 v9, v9, v94
	v_fma_f16 v87, v41, s5, v27
	v_fma_f16 v94, v41, s4, v27
	v_add_f16_e32 v27, v79, v95
	v_fma_f16 v27, v27, -0.5, v8
	v_sub_f16_e32 v41, v81, v78
	v_fma_f16 v42, v41, s4, v27
	v_fma_f16 v41, v41, s5, v27
	v_add_f16_e32 v27, v96, v97
	v_fma_f16 v27, v27, -0.5, v7
	v_fma_f16 v48, v43, s4, v27
	v_fma_f16 v43, v43, s5, v27
	v_add_f16_e32 v27, v98, v83
	v_fma_f16 v27, v27, -0.5, v6
	v_sub_f16_e32 v49, v38, v77
	v_fma_f16 v52, v49, s4, v27
	v_fma_f16 v49, v49, s5, v27
	v_add_f16_e32 v27, v99, v84
	v_fma_f16 v27, v27, -0.5, v5
	v_sub_f16_e32 v55, v34, v100
	;; [unrolled: 5-line block ×3, first 2 shown]
	v_fma_f16 v58, v57, s4, v27
	v_fma_f16 v57, v57, s5, v27
	v_add_f16_e32 v27, v102, v68
	v_fma_f16 v27, v27, -0.5, v3
	v_fma_f16 v60, v59, s4, v27
	v_fma_f16 v59, v59, s5, v27
	v_add_f16_e32 v27, v69, v70
	v_fma_f16 v27, v27, -0.5, v1
	;; [unrolled: 4-line block ×3, first 2 shown]
	v_sub_f16_e32 v63, v12, v17
	v_fma_f16 v64, v63, s4, v27
	v_fma_f16 v63, v63, s5, v27
	v_add_f16_e32 v27, v73, v74
	v_fma_f16 v27, v27, -0.5, v2
	v_sub_f16_e32 v65, v10, v13
	v_fma_f16 v66, v65, s4, v27
	v_fma_f16 v65, v65, s5, v27
	v_mov_b32_e32 v27, 1
	v_lshlrev_b32_sdwa v14, v27, v14 dst_sel:DWORD dst_unused:UNUSED_PAD src0_sel:DWORD src1_sel:BYTE_0
	v_add3_u32 v11, 0, v11, v14
	ds_read_u16 v14, v25 offset:1728
	s_waitcnt lgkmcnt(0)
	s_barrier
	ds_write_b16 v11, v9
	ds_write_b16 v11, v36 offset:6
	ds_write_b16 v11, v33 offset:12
	v_lshlrev_b32_sdwa v9, v27, v31 dst_sel:DWORD dst_unused:UNUSED_PAD src0_sel:DWORD src1_sel:BYTE_0
	v_add_f16_e32 v8, v8, v79
	v_add3_u32 v9, 0, v18, v9
	v_add_f16_e32 v8, v8, v95
	ds_write_b16 v9, v8
	ds_write_b16 v9, v42 offset:6
	ds_write_b16 v9, v41 offset:12
	v_lshlrev_b32_e32 v8, 1, v35
	v_mul_u32_u24_e32 v18, 18, v32
	v_add_f16_e32 v7, v7, v96
	v_add3_u32 v8, 0, v18, v8
	v_add_f16_e32 v7, v7, v97
	ds_write_b16 v8, v7
	ds_write_b16 v8, v48 offset:6
	ds_write_b16 v8, v43 offset:12
	v_lshlrev_b32_e32 v7, 1, v40
	v_mul_u32_u24_e32 v18, 18, v39
	;; [unrolled: 8-line block ×6, first 2 shown]
	v_add_f16_e32 v1, v1, v69
	v_add3_u32 v3, 0, v18, v3
	v_add_f16_e32 v1, v1, v70
	ds_write_b16 v3, v1
	ds_write_b16 v3, v62 offset:6
	ds_write_b16 v3, v61 offset:12
	v_add_f16_e32 v0, v0, v80
	v_add_f16_e32 v1, v2, v73
	v_lshlrev_b32_e32 v2, 1, v89
	v_mul_u32_u24_e32 v31, 18, v88
	v_add_f16_e32 v0, v0, v72
	v_add3_u32 v2, 0, v31, v2
	v_lshlrev_b32_e32 v18, 1, v91
	ds_write_b16 v2, v0
	ds_write_b16 v2, v64 offset:6
	ds_write_b16 v2, v63 offset:12
	v_mul_u32_u24_e32 v0, 18, v90
	v_add_f16_e32 v1, v1, v74
	v_add3_u32 v0, 0, v0, v18
	ds_write_b16 v0, v1
	ds_write_b16 v0, v66 offset:6
	ds_write_b16 v0, v65 offset:12
	s_waitcnt lgkmcnt(0)
	s_barrier
	ds_read_u16 v39, v25
	ds_read_u16 v36, v25 offset:216
	ds_read_u16 v50, v25 offset:3456
	;; [unrolled: 1-line block ×29, first 2 shown]
	s_waitcnt lgkmcnt(0)
	s_barrier
	ds_write_b16 v11, v107
	ds_write_b16 v11, v87 offset:6
	ds_write_b16 v11, v94 offset:12
	v_add_f16_e32 v11, v81, v78
	v_add_f16_e32 v32, v82, v76
	v_fma_f16 v11, v11, -0.5, v75
	v_sub_f16_e32 v18, v79, v95
	v_fma_f16 v32, v32, -0.5, v92
	v_sub_f16_e32 v35, v96, v97
	v_add_f16_e32 v1, v75, v81
	v_fma_f16 v31, v18, s5, v11
	v_fma_f16 v11, v18, s4, v11
	v_add_f16_e32 v18, v92, v82
	v_fma_f16 v75, v35, s5, v32
	v_fma_f16 v32, v35, s4, v32
	v_add_f16_e32 v35, v93, v38
	v_add_f16_e32 v38, v38, v77
	;; [unrolled: 1-line block ×3, first 2 shown]
	v_fma_f16 v38, v38, -0.5, v93
	v_sub_f16_e32 v76, v98, v83
	v_add_f16_e32 v35, v35, v77
	v_fma_f16 v77, v76, s5, v38
	v_fma_f16 v38, v76, s4, v38
	v_add_f16_e32 v76, v103, v34
	v_add_f16_e32 v34, v34, v100
	v_add_f16_e32 v1, v1, v78
	v_fma_f16 v34, v34, -0.5, v103
	v_sub_f16_e32 v78, v99, v84
	v_fma_f16 v79, v78, s5, v34
	v_fma_f16 v34, v78, s4, v34
	v_add_f16_e32 v78, v104, v15
	v_add_f16_e32 v15, v15, v67
	v_add_f16_e32 v78, v78, v67
	v_fma_f16 v15, v15, -0.5, v104
	v_sub_f16_e32 v67, v101, v85
	;; [unrolled: 7-line block ×3, first 2 shown]
	v_fma_f16 v68, v37, s5, v19
	v_fma_f16 v19, v37, s4, v19
	v_add_f16_e32 v37, v106, v16
	v_add_f16_e32 v16, v16, v71
	v_fma_f16 v16, v16, -0.5, v106
	v_sub_f16_e32 v69, v69, v70
	v_fma_f16 v70, v69, s5, v16
	v_fma_f16 v16, v69, s4, v16
	v_add_f16_e32 v69, v14, v12
	v_add_f16_e32 v12, v12, v17
	v_fma_f16 v12, v12, -0.5, v14
	v_sub_f16_e32 v14, v80, v72
	v_add_f16_e32 v69, v69, v17
	v_fma_f16 v17, v14, s5, v12
	v_fma_f16 v12, v14, s4, v12
	v_add_f16_e32 v14, v86, v10
	v_add_f16_e32 v10, v10, v13
	;; [unrolled: 1-line block ×3, first 2 shown]
	v_fma_f16 v10, v10, -0.5, v86
	v_sub_f16_e32 v13, v73, v74
	v_add_f16_e32 v76, v76, v100
	v_add_f16_e32 v37, v37, v71
	v_fma_f16 v71, v13, s5, v10
	v_fma_f16 v10, v13, s4, v10
	ds_write_b16 v9, v1
	ds_write_b16 v9, v31 offset:6
	ds_write_b16 v9, v11 offset:12
	ds_write_b16 v8, v18
	ds_write_b16 v8, v75 offset:6
	ds_write_b16 v8, v32 offset:12
	;; [unrolled: 3-line block ×9, first 2 shown]
	v_mov_b32_e32 v8, 57
	v_mul_lo_u16_sdwa v0, v24, v8 dst_sel:DWORD dst_unused:UNUSED_PAD src0_sel:BYTE_0 src1_sel:DWORD
	v_lshrrev_b16_e32 v31, 9, v0
	v_mul_lo_u16_e32 v0, 9, v31
	v_sub_u16_e32 v32, v24, v0
	v_mov_b32_e32 v9, 9
	v_mul_u32_u24_sdwa v0, v32, v9 dst_sel:DWORD dst_unused:UNUSED_PAD src0_sel:BYTE_0 src1_sel:DWORD
	v_lshlrev_b32_e32 v67, 2, v0
	s_waitcnt lgkmcnt(0)
	s_barrier
	global_load_dwordx4 v[4:7], v67, s[12:13] offset:24
	global_load_dwordx4 v[0:3], v67, s[12:13] offset:40
	v_mul_lo_u16_sdwa v8, v30, v8 dst_sel:DWORD dst_unused:UNUSED_PAD src0_sel:BYTE_0 src1_sel:DWORD
	v_lshrrev_b16_e32 v34, 9, v8
	v_mul_lo_u16_e32 v8, 9, v34
	v_sub_u16_e32 v35, v30, v8
	v_mul_u32_u24_sdwa v8, v35, v9 dst_sel:DWORD dst_unused:UNUSED_PAD src0_sel:BYTE_0 src1_sel:DWORD
	v_lshlrev_b32_e32 v68, 2, v8
	global_load_dwordx4 v[8:11], v68, s[12:13] offset:24
	global_load_dwordx4 v[12:15], v68, s[12:13] offset:40
	ds_read_u16 v69, v25 offset:1512
	ds_read_u16 v72, v25 offset:1296
	;; [unrolled: 1-line block ×5, first 2 shown]
	v_mul_u32_u24_sdwa v16, v29, s6 dst_sel:DWORD dst_unused:UNUSED_PAD src0_sel:WORD_0 src1_sel:DWORD
	v_lshrrev_b32_e32 v37, 19, v16
	v_mul_lo_u16_e32 v16, 9, v37
	v_sub_u16_e32 v38, v29, v16
	v_mul_u32_u24_e32 v16, 9, v38
	v_lshlrev_b32_e32 v73, 2, v16
	global_load_dwordx4 v[16:19], v73, s[12:13] offset:24
	ds_read_u16 v75, v25
	ds_read_u16 v76, v25 offset:216
	ds_read_u16 v77, v25 offset:432
	s_movk_i32 s6, 0x38b4
	s_waitcnt vmcnt(4) lgkmcnt(3)
	v_mul_f16_sdwa v78, v74, v4 dst_sel:DWORD dst_unused:UNUSED_PAD src0_sel:DWORD src1_sel:WORD_1
	v_fma_f16 v78, v66, v4, v78
	v_mul_f16_sdwa v66, v66, v4 dst_sel:DWORD dst_unused:UNUSED_PAD src0_sel:DWORD src1_sel:WORD_1
	v_fma_f16 v66, v74, v4, -v66
	v_mul_f16_sdwa v4, v72, v5 dst_sel:DWORD dst_unused:UNUSED_PAD src0_sel:DWORD src1_sel:WORD_1
	v_fma_f16 v74, v64, v5, v4
	v_mul_f16_sdwa v4, v64, v5 dst_sel:DWORD dst_unused:UNUSED_PAD src0_sel:DWORD src1_sel:WORD_1
	v_fma_f16 v64, v72, v5, -v4
	ds_read_u16 v4, v25 offset:1944
	ds_read_u16 v72, v25 offset:2160
	;; [unrolled: 1-line block ×8, first 2 shown]
	s_waitcnt lgkmcnt(7)
	v_mul_f16_sdwa v84, v4, v6 dst_sel:DWORD dst_unused:UNUSED_PAD src0_sel:DWORD src1_sel:WORD_1
	v_fma_f16 v84, v65, v6, v84
	v_mul_f16_sdwa v65, v65, v6 dst_sel:DWORD dst_unused:UNUSED_PAD src0_sel:DWORD src1_sel:WORD_1
	v_fma_f16 v65, v4, v6, -v65
	s_waitcnt lgkmcnt(2)
	v_mul_f16_sdwa v4, v5, v7 dst_sel:DWORD dst_unused:UNUSED_PAD src0_sel:DWORD src1_sel:WORD_1
	v_fma_f16 v85, v63, v7, v4
	v_mul_f16_sdwa v4, v63, v7 dst_sel:DWORD dst_unused:UNUSED_PAD src0_sel:DWORD src1_sel:WORD_1
	v_fma_f16 v63, v5, v7, -v4
	s_waitcnt vmcnt(3)
	v_mul_f16_sdwa v4, v80, v0 dst_sel:DWORD dst_unused:UNUSED_PAD src0_sel:DWORD src1_sel:WORD_1
	v_fma_f16 v86, v61, v0, v4
	global_load_dwordx4 v[4:7], v73, s[12:13] offset:40
	v_mul_f16_sdwa v61, v61, v0 dst_sel:DWORD dst_unused:UNUSED_PAD src0_sel:DWORD src1_sel:WORD_1
	v_fma_f16 v0, v80, v0, -v61
	ds_read_u16 v61, v25 offset:3888
	ds_read_u16 v80, v25 offset:4104
	;; [unrolled: 1-line block ×8, first 2 shown]
	s_waitcnt lgkmcnt(7)
	v_mul_f16_sdwa v93, v61, v1 dst_sel:DWORD dst_unused:UNUSED_PAD src0_sel:DWORD src1_sel:WORD_1
	v_fma_f16 v93, v62, v1, v93
	v_mul_f16_sdwa v62, v62, v1 dst_sel:DWORD dst_unused:UNUSED_PAD src0_sel:DWORD src1_sel:WORD_1
	v_fma_f16 v1, v61, v1, -v62
	global_load_dword v62, v67, s[12:13] offset:56
	s_waitcnt lgkmcnt(2)
	v_mul_f16_sdwa v61, v90, v2 dst_sel:DWORD dst_unused:UNUSED_PAD src0_sel:DWORD src1_sel:WORD_1
	v_fma_f16 v61, v60, v2, v61
	v_mul_f16_sdwa v60, v60, v2 dst_sel:DWORD dst_unused:UNUSED_PAD src0_sel:DWORD src1_sel:WORD_1
	v_fma_f16 v2, v90, v2, -v60
	global_load_dword v60, v68, s[12:13] offset:56
	global_load_dword v67, v73, s[12:13] offset:56
	ds_read_u16 v68, v25 offset:5184
	ds_read_u16 v73, v25 offset:5400
	;; [unrolled: 1-line block ×6, first 2 shown]
	s_waitcnt lgkmcnt(5)
	v_mul_f16_sdwa v97, v68, v3 dst_sel:DWORD dst_unused:UNUSED_PAD src0_sel:DWORD src1_sel:WORD_1
	v_fma_f16 v97, v56, v3, v97
	v_mul_f16_sdwa v56, v56, v3 dst_sel:DWORD dst_unused:UNUSED_PAD src0_sel:DWORD src1_sel:WORD_1
	v_fma_f16 v3, v68, v3, -v56
	s_waitcnt vmcnt(6)
	v_mul_f16_sdwa v56, v71, v8 dst_sel:DWORD dst_unused:UNUSED_PAD src0_sel:DWORD src1_sel:WORD_1
	v_fma_f16 v56, v57, v8, v56
	v_mul_f16_sdwa v57, v57, v8 dst_sel:DWORD dst_unused:UNUSED_PAD src0_sel:DWORD src1_sel:WORD_1
	v_fma_f16 v8, v71, v8, -v57
	v_mul_f16_sdwa v57, v69, v9 dst_sel:DWORD dst_unused:UNUSED_PAD src0_sel:DWORD src1_sel:WORD_1
	v_fma_f16 v57, v53, v9, v57
	v_mul_f16_sdwa v53, v53, v9 dst_sel:DWORD dst_unused:UNUSED_PAD src0_sel:DWORD src1_sel:WORD_1
	v_fma_f16 v9, v69, v9, -v53
	v_mul_f16_sdwa v53, v72, v10 dst_sel:DWORD dst_unused:UNUSED_PAD src0_sel:DWORD src1_sel:WORD_1
	v_fma_f16 v53, v59, v10, v53
	v_mul_f16_sdwa v59, v59, v10 dst_sel:DWORD dst_unused:UNUSED_PAD src0_sel:DWORD src1_sel:WORD_1
	v_fma_f16 v10, v72, v10, -v59
	v_mul_f16_sdwa v59, v79, v11 dst_sel:DWORD dst_unused:UNUSED_PAD src0_sel:DWORD src1_sel:WORD_1
	v_fma_f16 v59, v55, v11, v59
	v_mul_f16_sdwa v55, v55, v11 dst_sel:DWORD dst_unused:UNUSED_PAD src0_sel:DWORD src1_sel:WORD_1
	v_fma_f16 v11, v79, v11, -v55
	s_waitcnt vmcnt(5)
	v_mul_f16_sdwa v55, v87, v12 dst_sel:DWORD dst_unused:UNUSED_PAD src0_sel:DWORD src1_sel:WORD_1
	v_fma_f16 v55, v50, v12, v55
	v_mul_f16_sdwa v50, v50, v12 dst_sel:DWORD dst_unused:UNUSED_PAD src0_sel:DWORD src1_sel:WORD_1
	v_fma_f16 v12, v87, v12, -v50
	v_mul_f16_sdwa v50, v80, v13 dst_sel:DWORD dst_unused:UNUSED_PAD src0_sel:DWORD src1_sel:WORD_1
	v_fma_f16 v50, v58, v13, v50
	v_mul_f16_sdwa v58, v58, v13 dst_sel:DWORD dst_unused:UNUSED_PAD src0_sel:DWORD src1_sel:WORD_1
	v_fma_f16 v13, v80, v13, -v58
	;; [unrolled: 4-line block ×3, first 2 shown]
	s_waitcnt lgkmcnt(4)
	v_mul_f16_sdwa v54, v73, v15 dst_sel:DWORD dst_unused:UNUSED_PAD src0_sel:DWORD src1_sel:WORD_1
	v_fma_f16 v54, v45, v15, v54
	v_mul_f16_sdwa v45, v45, v15 dst_sel:DWORD dst_unused:UNUSED_PAD src0_sel:DWORD src1_sel:WORD_1
	v_fma_f16 v15, v73, v15, -v45
	s_waitcnt vmcnt(4)
	v_mul_f16_sdwa v45, v70, v16 dst_sel:DWORD dst_unused:UNUSED_PAD src0_sel:DWORD src1_sel:WORD_1
	v_fma_f16 v45, v46, v16, v45
	v_mul_f16_sdwa v46, v46, v16 dst_sel:DWORD dst_unused:UNUSED_PAD src0_sel:DWORD src1_sel:WORD_1
	v_fma_f16 v16, v70, v16, -v46
	v_mul_f16_sdwa v46, v83, v17 dst_sel:DWORD dst_unused:UNUSED_PAD src0_sel:DWORD src1_sel:WORD_1
	v_fma_f16 v46, v52, v17, v46
	v_mul_f16_sdwa v52, v52, v17 dst_sel:DWORD dst_unused:UNUSED_PAD src0_sel:DWORD src1_sel:WORD_1
	v_fma_f16 v17, v83, v17, -v52
	;; [unrolled: 4-line block ×4, first 2 shown]
	v_sub_f16_e32 v68, v74, v85
	v_sub_f16_e32 v69, v97, v93
	v_add_f16_e32 v68, v68, v69
	v_sub_f16_e32 v69, v64, v3
	v_sub_f16_e32 v71, v63, v1
	v_sub_f16_e32 v72, v93, v97
	v_sub_f16_e32 v82, v50, v54
	s_waitcnt vmcnt(0) lgkmcnt(0)
	s_barrier
	v_mul_f16_sdwa v43, v92, v4 dst_sel:DWORD dst_unused:UNUSED_PAD src0_sel:DWORD src1_sel:WORD_1
	v_fma_f16 v43, v51, v4, v43
	v_mul_f16_sdwa v51, v51, v4 dst_sel:DWORD dst_unused:UNUSED_PAD src0_sel:DWORD src1_sel:WORD_1
	v_fma_f16 v4, v92, v4, -v51
	v_mul_f16_sdwa v51, v91, v5 dst_sel:DWORD dst_unused:UNUSED_PAD src0_sel:DWORD src1_sel:WORD_1
	v_fma_f16 v51, v47, v5, v51
	v_mul_f16_sdwa v47, v47, v5 dst_sel:DWORD dst_unused:UNUSED_PAD src0_sel:DWORD src1_sel:WORD_1
	v_fma_f16 v5, v91, v5, -v47
	;; [unrolled: 4-line block ×7, first 2 shown]
	v_add_f16_e32 v67, v85, v93
	v_fma_f16 v67, v67, -0.5, v39
	v_fma_f16 v70, v69, s14, v67
	v_fma_f16 v67, v69, s7, v67
	;; [unrolled: 1-line block ×6, first 2 shown]
	v_sub_f16_e32 v68, v85, v74
	v_add_f16_e32 v68, v68, v72
	v_add_f16_e32 v72, v74, v97
	v_fma_f16 v72, v72, -0.5, v39
	v_fma_f16 v73, v71, s7, v72
	v_fma_f16 v71, v71, s14, v72
	;; [unrolled: 1-line block ×6, first 2 shown]
	v_add_f16_e32 v39, v39, v74
	v_sub_f16_e32 v69, v74, v97
	v_sub_f16_e32 v73, v64, v63
	;; [unrolled: 1-line block ×3, first 2 shown]
	v_add_f16_e32 v73, v73, v74
	v_add_f16_e32 v74, v63, v1
	v_fma_f16 v74, v74, -0.5, v75
	v_sub_f16_e32 v72, v85, v93
	v_fma_f16 v79, v69, s7, v74
	v_fma_f16 v74, v69, s14, v74
	;; [unrolled: 1-line block ×6, first 2 shown]
	v_add_f16_e32 v74, v64, v3
	v_fma_f16 v74, v74, -0.5, v75
	v_add_f16_e32 v75, v75, v64
	v_add_f16_e32 v75, v75, v63
	v_sub_f16_e32 v63, v63, v64
	v_add_f16_e32 v64, v75, v1
	v_sub_f16_e32 v1, v1, v3
	v_add_f16_e32 v64, v64, v3
	v_add_f16_e32 v1, v63, v1
	v_fma_f16 v3, v72, s14, v74
	v_fma_f16 v63, v72, s7, v74
	;; [unrolled: 1-line block ×6, first 2 shown]
	v_sub_f16_e32 v63, v84, v86
	v_sub_f16_e32 v69, v48, v61
	v_add_f16_e32 v63, v63, v69
	v_add_f16_e32 v69, v86, v61
	v_fma_f16 v69, v69, -0.5, v78
	v_sub_f16_e32 v72, v65, v44
	v_fma_f16 v74, v72, s14, v69
	v_sub_f16_e32 v75, v0, v2
	v_fma_f16 v69, v72, s7, v69
	v_fma_f16 v74, v75, s9, v74
	;; [unrolled: 1-line block ×5, first 2 shown]
	v_sub_f16_e32 v69, v86, v84
	v_sub_f16_e32 v80, v61, v48
	v_add_f16_e32 v69, v69, v80
	v_add_f16_e32 v80, v84, v48
	v_fma_f16 v80, v80, -0.5, v78
	v_fma_f16 v81, v75, s7, v80
	v_fma_f16 v75, v75, s14, v80
	;; [unrolled: 1-line block ×6, first 2 shown]
	v_add_f16_e32 v72, v78, v84
	v_add_f16_e32 v72, v72, v86
	v_sub_f16_e32 v78, v65, v0
	v_sub_f16_e32 v80, v44, v2
	v_add_f16_e32 v72, v72, v61
	v_add_f16_e32 v78, v78, v80
	;; [unrolled: 1-line block ×4, first 2 shown]
	v_sub_f16_e32 v48, v84, v48
	v_fma_f16 v80, v80, -0.5, v66
	v_sub_f16_e32 v61, v86, v61
	v_fma_f16 v81, v48, s7, v80
	v_fma_f16 v80, v48, s14, v80
	;; [unrolled: 1-line block ×6, first 2 shown]
	v_add_f16_e32 v80, v65, v44
	v_fma_f16 v80, v80, -0.5, v66
	v_add_f16_e32 v66, v66, v65
	v_add_f16_e32 v66, v66, v0
	v_sub_f16_e32 v0, v0, v65
	v_add_f16_e32 v65, v66, v2
	v_sub_f16_e32 v2, v2, v44
	v_add_f16_e32 v65, v65, v44
	v_add_f16_e32 v0, v0, v2
	v_fma_f16 v2, v61, s14, v80
	v_fma_f16 v44, v61, s7, v80
	;; [unrolled: 1-line block ×6, first 2 shown]
	v_mul_f16_e32 v48, 0xb8b4, v81
	v_mul_f16_e32 v61, 0x3a79, v81
	v_add_f16_e32 v39, v39, v85
	v_fma_f16 v48, v74, s17, v48
	v_fma_f16 v61, v74, s6, v61
	v_mul_f16_e32 v66, 0xbb9c, v2
	v_mul_f16_e32 v2, 0x34f2, v2
	;; [unrolled: 1-line block ×4, first 2 shown]
	v_add_f16_e32 v39, v39, v93
	v_fma_f16 v66, v75, s8, v66
	v_fma_f16 v2, v75, s7, v2
	;; [unrolled: 1-line block ×4, first 2 shown]
	v_mul_f16_e32 v69, 0xb8b4, v78
	v_mul_f16_e32 v75, 0xba79, v78
	v_add_f16_e32 v39, v39, v97
	v_fma_f16 v69, v63, s15, v69
	v_fma_f16 v63, v63, s6, v75
	v_add_f16_e32 v44, v39, v72
	v_add_f16_e32 v75, v70, v48
	v_sub_f16_e32 v39, v39, v72
	v_add_f16_e32 v72, v71, v66
	v_sub_f16_e32 v48, v70, v48
	;; [unrolled: 2-line block ×9, first 2 shown]
	v_sub_f16_e32 v1, v73, v63
	v_sub_f16_e32 v61, v57, v59
	;; [unrolled: 1-line block ×3, first 2 shown]
	v_add_f16_e32 v61, v61, v63
	v_add_f16_e32 v63, v59, v50
	v_fma_f16 v63, v63, -0.5, v36
	v_sub_f16_e32 v73, v9, v15
	v_fma_f16 v80, v73, s14, v63
	v_sub_f16_e32 v81, v11, v13
	v_fma_f16 v63, v73, s7, v63
	v_fma_f16 v80, v81, s9, v80
	;; [unrolled: 1-line block ×5, first 2 shown]
	v_sub_f16_e32 v63, v59, v57
	v_add_f16_e32 v63, v63, v82
	v_add_f16_e32 v82, v57, v54
	v_fma_f16 v82, v82, -0.5, v36
	v_add_f16_e32 v36, v36, v57
	v_add_f16_e32 v36, v36, v59
	;; [unrolled: 1-line block ×4, first 2 shown]
	v_sub_f16_e32 v54, v57, v54
	v_sub_f16_e32 v50, v59, v50
	;; [unrolled: 1-line block ×4, first 2 shown]
	v_fma_f16 v83, v81, s7, v82
	v_fma_f16 v81, v81, s14, v82
	v_add_f16_e32 v57, v57, v59
	v_add_f16_e32 v59, v11, v13
	v_fma_f16 v82, v73, s9, v83
	v_fma_f16 v73, v73, s6, v81
	v_fma_f16 v59, v59, -0.5, v76
	v_fma_f16 v81, v63, s8, v82
	v_fma_f16 v63, v63, s8, v73
	;; [unrolled: 1-line block ×8, first 2 shown]
	v_add_f16_e32 v59, v9, v15
	v_fma_f16 v59, v59, -0.5, v76
	v_add_f16_e32 v76, v76, v9
	v_add_f16_e32 v76, v76, v11
	v_sub_f16_e32 v9, v11, v9
	v_add_f16_e32 v11, v76, v13
	v_sub_f16_e32 v13, v13, v15
	v_add_f16_e32 v11, v11, v15
	v_add_f16_e32 v9, v9, v13
	v_fma_f16 v13, v50, s14, v59
	v_fma_f16 v15, v50, s7, v59
	;; [unrolled: 1-line block ×6, first 2 shown]
	v_sub_f16_e32 v15, v53, v55
	v_sub_f16_e32 v50, v62, v58
	v_add_f16_e32 v15, v15, v50
	v_add_f16_e32 v50, v55, v58
	v_fma_f16 v50, v50, -0.5, v56
	v_sub_f16_e32 v54, v10, v41
	v_fma_f16 v59, v54, s14, v50
	v_sub_f16_e32 v76, v12, v14
	v_fma_f16 v50, v54, s7, v50
	v_fma_f16 v59, v76, s9, v59
	;; [unrolled: 1-line block ×5, first 2 shown]
	v_sub_f16_e32 v50, v55, v53
	v_sub_f16_e32 v82, v58, v62
	v_add_f16_e32 v50, v50, v82
	v_add_f16_e32 v82, v53, v62
	v_fma_f16 v82, v82, -0.5, v56
	v_fma_f16 v83, v76, s7, v82
	v_fma_f16 v76, v76, s14, v82
	;; [unrolled: 1-line block ×6, first 2 shown]
	v_add_f16_e32 v54, v56, v53
	v_add_f16_e32 v54, v54, v55
	;; [unrolled: 1-line block ×3, first 2 shown]
	v_sub_f16_e32 v55, v55, v58
	v_sub_f16_e32 v56, v10, v12
	;; [unrolled: 1-line block ×3, first 2 shown]
	v_add_f16_e32 v56, v56, v58
	v_add_f16_e32 v58, v12, v14
	v_sub_f16_e32 v53, v53, v62
	v_fma_f16 v58, v58, -0.5, v8
	v_add_f16_e32 v54, v54, v62
	v_fma_f16 v62, v53, s7, v58
	v_fma_f16 v58, v53, s14, v58
	;; [unrolled: 1-line block ×6, first 2 shown]
	v_add_f16_e32 v58, v10, v41
	v_fma_f16 v58, v58, -0.5, v8
	v_add_f16_e32 v8, v8, v10
	v_add_f16_e32 v8, v8, v12
	v_sub_f16_e32 v10, v12, v10
	v_sub_f16_e32 v12, v14, v41
	v_add_f16_e32 v8, v8, v14
	v_add_f16_e32 v10, v10, v12
	v_fma_f16 v12, v55, s14, v58
	v_fma_f16 v14, v55, s7, v58
	v_fma_f16 v12, v53, s6, v12
	v_fma_f16 v14, v53, s9, v14
	v_fma_f16 v12, v10, s8, v12
	v_fma_f16 v10, v10, s8, v14
	v_mul_f16_e32 v55, 0xbb9c, v10
	v_mul_f16_e32 v10, 0xb4f2, v10
	v_add_f16_e32 v8, v8, v41
	v_mul_f16_e32 v41, 0x3a79, v62
	v_mul_f16_e32 v53, 0xbb9c, v12
	;; [unrolled: 1-line block ×3, first 2 shown]
	v_fma_f16 v55, v50, s16, v55
	v_fma_f16 v10, v50, s7, v10
	v_mul_f16_e32 v50, 0xb8b4, v56
	v_mul_f16_e32 v56, 0xba79, v56
	;; [unrolled: 1-line block ×3, first 2 shown]
	v_fma_f16 v41, v59, s6, v41
	v_fma_f16 v12, v76, s7, v12
	v_fma_f16 v50, v15, s15, v50
	v_fma_f16 v15, v15, s6, v56
	v_fma_f16 v14, v59, s17, v14
	v_fma_f16 v53, v76, s8, v53
	v_add_f16_e32 v59, v63, v55
	v_sub_f16_e32 v55, v63, v55
	v_add_f16_e32 v63, v11, v8
	v_sub_f16_e32 v8, v11, v8
	;; [unrolled: 2-line block ×6, first 2 shown]
	v_sub_f16_e32 v41, v46, v49
	v_sub_f16_e32 v57, v42, v51
	v_add_f16_e32 v41, v41, v57
	v_add_f16_e32 v57, v49, v51
	v_add_f16_e32 v62, v61, v50
	v_sub_f16_e32 v50, v61, v50
	v_fma_f16 v57, v57, -0.5, v33
	v_sub_f16_e32 v61, v17, v7
	v_add_f16_e32 v56, v36, v54
	v_sub_f16_e32 v36, v36, v54
	v_add_f16_e32 v54, v80, v14
	;; [unrolled: 2-line block ×3, first 2 shown]
	v_sub_f16_e32 v53, v81, v53
	v_fma_f16 v80, v61, s14, v57
	v_sub_f16_e32 v81, v19, v5
	v_fma_f16 v57, v61, s7, v57
	v_fma_f16 v80, v81, s9, v80
	;; [unrolled: 1-line block ×5, first 2 shown]
	v_sub_f16_e32 v57, v49, v46
	v_sub_f16_e32 v82, v51, v42
	v_add_f16_e32 v57, v57, v82
	v_add_f16_e32 v82, v46, v42
	v_fma_f16 v82, v82, -0.5, v33
	v_add_f16_e32 v33, v33, v46
	v_add_f16_e32 v33, v33, v49
	;; [unrolled: 1-line block ×4, first 2 shown]
	v_sub_f16_e32 v42, v46, v42
	v_sub_f16_e32 v46, v49, v51
	;; [unrolled: 1-line block ×4, first 2 shown]
	v_fma_f16 v83, v81, s7, v82
	v_fma_f16 v81, v81, s14, v82
	v_add_f16_e32 v49, v49, v51
	v_add_f16_e32 v51, v19, v5
	v_fma_f16 v82, v61, s9, v83
	v_fma_f16 v61, v61, s6, v81
	v_fma_f16 v51, v51, -0.5, v77
	v_fma_f16 v81, v57, s8, v82
	v_fma_f16 v57, v57, s8, v61
	;; [unrolled: 1-line block ×8, first 2 shown]
	v_add_f16_e32 v51, v17, v7
	v_fma_f16 v51, v51, -0.5, v77
	v_add_f16_e32 v77, v77, v17
	v_add_f16_e32 v77, v77, v19
	v_sub_f16_e32 v17, v19, v17
	v_add_f16_e32 v19, v77, v5
	v_sub_f16_e32 v5, v5, v7
	v_add_f16_e32 v19, v19, v7
	v_add_f16_e32 v5, v17, v5
	v_fma_f16 v7, v46, s14, v51
	v_fma_f16 v17, v46, s7, v51
	v_fma_f16 v7, v42, s6, v7
	v_fma_f16 v17, v42, s9, v17
	v_fma_f16 v7, v5, s8, v7
	v_fma_f16 v5, v5, s8, v17
	v_sub_f16_e32 v17, v52, v43
	v_sub_f16_e32 v42, v60, v47
	v_add_f16_e32 v17, v17, v42
	v_add_f16_e32 v42, v43, v47
	v_fma_f16 v42, v42, -0.5, v45
	v_sub_f16_e32 v46, v18, v40
	v_fma_f16 v51, v46, s14, v42
	v_sub_f16_e32 v77, v4, v6
	v_fma_f16 v42, v46, s7, v42
	v_fma_f16 v51, v77, s9, v51
	;; [unrolled: 1-line block ×5, first 2 shown]
	v_sub_f16_e32 v42, v43, v52
	v_sub_f16_e32 v82, v47, v60
	v_add_f16_e32 v42, v42, v82
	v_add_f16_e32 v82, v52, v60
	v_fma_f16 v82, v82, -0.5, v45
	v_fma_f16 v83, v77, s7, v82
	v_fma_f16 v77, v77, s14, v82
	v_add_f16_e32 v45, v45, v52
	v_fma_f16 v82, v46, s9, v83
	v_fma_f16 v46, v46, s6, v77
	v_add_f16_e32 v45, v45, v43
	;; [unrolled: 3-line block ×3, first 2 shown]
	v_sub_f16_e32 v46, v52, v60
	v_sub_f16_e32 v43, v43, v47
	;; [unrolled: 1-line block ×4, first 2 shown]
	v_add_f16_e32 v47, v47, v52
	v_add_f16_e32 v52, v4, v6
	v_fma_f16 v52, v52, -0.5, v16
	v_add_f16_e32 v45, v45, v60
	v_fma_f16 v60, v46, s7, v52
	v_fma_f16 v52, v46, s14, v52
	;; [unrolled: 1-line block ×6, first 2 shown]
	v_add_f16_e32 v52, v18, v40
	v_fma_f16 v52, v52, -0.5, v16
	v_add_f16_e32 v16, v16, v18
	v_add_f16_e32 v16, v16, v4
	v_sub_f16_e32 v4, v4, v18
	v_add_f16_e32 v16, v16, v6
	v_sub_f16_e32 v6, v6, v40
	v_add_f16_e32 v4, v4, v6
	v_fma_f16 v6, v43, s14, v52
	v_fma_f16 v18, v43, s7, v52
	;; [unrolled: 1-line block ×6, first 2 shown]
	v_mul_f16_e32 v46, 0xbb9c, v4
	v_mul_f16_e32 v4, 0xb4f2, v4
	;; [unrolled: 1-line block ×4, first 2 shown]
	v_fma_f16 v46, v42, s16, v46
	v_fma_f16 v4, v42, s7, v4
	v_mul_f16_e32 v42, 0xb8b4, v47
	v_mul_f16_e32 v47, 0xba79, v47
	v_add_f16_e32 v16, v16, v40
	v_fma_f16 v6, v77, s7, v6
	v_fma_f16 v42, v17, s15, v42
	;; [unrolled: 1-line block ×4, first 2 shown]
	v_add_f16_e32 v77, v19, v16
	v_sub_f16_e32 v16, v19, v16
	v_add_f16_e32 v82, v7, v6
	v_sub_f16_e32 v6, v7, v6
	;; [unrolled: 2-line block ×4, first 2 shown]
	v_mul_u32_u24_e32 v17, 0xb4, v31
	v_lshlrev_b32_sdwa v19, v27, v32 dst_sel:DWORD dst_unused:UNUSED_PAD src0_sel:DWORD src1_sel:BYTE_0
	v_add3_u32 v31, 0, v17, v19
	v_mul_u32_u24_e32 v17, 0xb4, v34
	v_lshlrev_b32_sdwa v19, v27, v35 dst_sel:DWORD dst_unused:UNUSED_PAD src0_sel:DWORD src1_sel:BYTE_0
	v_mul_f16_e32 v18, 0xb8b4, v60
	v_add3_u32 v32, 0, v17, v19
	v_fma_f16 v18, v51, s17, v18
	v_mul_f16_e32 v40, 0x3a79, v60
	ds_write_b16 v31, v44
	ds_write_b16 v31, v75 offset:18
	ds_write_b16 v31, v72 offset:36
	;; [unrolled: 1-line block ×9, first 2 shown]
	ds_write_b16 v32, v56
	ds_write_b16 v32, v54 offset:18
	ds_write_b16 v32, v58 offset:36
	;; [unrolled: 1-line block ×9, first 2 shown]
	v_mul_u32_u24_e32 v14, 0xb4, v37
	v_lshlrev_b32_e32 v17, 1, v38
	v_fma_f16 v40, v51, s6, v40
	v_add_f16_e32 v47, v33, v45
	v_sub_f16_e32 v33, v33, v45
	v_add_f16_e32 v45, v80, v18
	v_add_f16_e32 v51, v81, v43
	v_sub_f16_e32 v43, v81, v43
	v_add_f16_e32 v52, v57, v46
	v_sub_f16_e32 v46, v57, v46
	;; [unrolled: 2-line block ×3, first 2 shown]
	v_add3_u32 v14, 0, v14, v17
	s_movk_i32 s6, 0x5a
	v_sub_f16_e32 v18, v80, v18
	v_add_f16_e32 v80, v61, v40
	v_sub_f16_e32 v81, v61, v40
	ds_write_b16 v14, v47
	ds_write_b16 v14, v45 offset:18
	ds_write_b16 v14, v51 offset:36
	ds_write_b16 v14, v52 offset:54
	ds_write_b16 v14, v57 offset:72
	ds_write_b16 v14, v33 offset:90
	ds_write_b16 v14, v18 offset:108
	ds_write_b16 v14, v43 offset:126
	ds_write_b16 v14, v46 offset:144
	ds_write_b16 v14, v41 offset:162
	s_waitcnt lgkmcnt(0)
	s_barrier
	ds_read_u16 v50, v25 offset:1512
	ds_read_u16 v36, v25
	ds_read_u16 v35, v25 offset:216
	ds_read_u16 v33, v25 offset:432
	;; [unrolled: 1-line block ×28, first 2 shown]
	s_waitcnt lgkmcnt(0)
	s_barrier
	ds_write_b16 v31, v74
	ds_write_b16 v31, v69 offset:18
	ds_write_b16 v31, v65 offset:36
	ds_write_b16 v31, v79 offset:54
	ds_write_b16 v31, v3 offset:72
	ds_write_b16 v31, v64 offset:90
	ds_write_b16 v31, v78 offset:108
	ds_write_b16 v31, v2 offset:126
	ds_write_b16 v31, v0 offset:144
	ds_write_b16 v31, v1 offset:162
	ds_write_b16 v32, v63
	ds_write_b16 v32, v11 offset:18
	ds_write_b16 v32, v76 offset:36
	ds_write_b16 v32, v13 offset:54
	ds_write_b16 v32, v10 offset:72
	ds_write_b16 v32, v8 offset:90
	ds_write_b16 v32, v73 offset:108
	ds_write_b16 v32, v12 offset:126
	ds_write_b16 v32, v9 offset:144
	ds_write_b16 v32, v15 offset:162
	;; [unrolled: 10-line block ×3, first 2 shown]
	v_add_u32_e32 v0, 0xffffffa6, v24
	v_cmp_gt_u32_e32 vcc, s6, v24
	v_cndmask_b32_e32 v18, v0, v24, vcc
	v_mul_i32_i24_e32 v15, 5, v18
	v_mov_b32_e32 v16, 0
	v_lshlrev_b64 v[0:1], 2, v[15:16]
	v_mov_b32_e32 v2, s13
	v_add_co_u32_e32 v66, vcc, s12, v0
	v_addc_co_u32_e32 v67, vcc, v2, v1, vcc
	s_waitcnt lgkmcnt(0)
	s_barrier
	global_load_dwordx4 v[0:3], v[66:67], off offset:348
	s_movk_i32 s6, 0xb7
	v_mul_lo_u16_sdwa v4, v30, s6 dst_sel:DWORD dst_unused:UNUSED_PAD src0_sel:BYTE_0 src1_sel:DWORD
	v_lshrrev_b16_e32 v31, 14, v4
	v_mul_lo_u16_e32 v4, 0x5a, v31
	v_sub_u16_e32 v30, v30, v4
	v_mov_b32_e32 v4, 5
	v_mul_u32_u24_sdwa v4, v30, v4 dst_sel:DWORD dst_unused:UNUSED_PAD src0_sel:BYTE_0 src1_sel:DWORD
	v_lshlrev_b32_e32 v62, 2, v4
	global_load_dwordx4 v[4:7], v62, s[12:13] offset:348
	s_movk_i32 s6, 0x2d83
	v_mul_u32_u24_sdwa v8, v29, s6 dst_sel:DWORD dst_unused:UNUSED_PAD src0_sel:WORD_0 src1_sel:DWORD
	v_lshrrev_b32_e32 v32, 20, v8
	v_mul_u32_u24_sdwa v12, v28, s6 dst_sel:DWORD dst_unused:UNUSED_PAD src0_sel:WORD_0 src1_sel:DWORD
	v_mul_lo_u16_e32 v8, 0x5a, v32
	v_lshrrev_b32_e32 v34, 20, v12
	v_sub_u16_e32 v29, v29, v8
	v_mul_lo_u16_e32 v12, 0x5a, v34
	v_mul_u32_u24_e32 v8, 5, v29
	v_sub_u16_e32 v28, v28, v12
	v_lshlrev_b32_e32 v63, 2, v8
	global_load_dwordx4 v[8:11], v63, s[12:13] offset:348
	v_mul_u32_u24_e32 v12, 5, v28
	v_lshlrev_b32_e32 v65, 2, v12
	global_load_dwordx4 v[12:15], v65, s[12:13] offset:348
	ds_read_u16 v64, v25 offset:1512
	ds_read_u16 v70, v25 offset:1296
	;; [unrolled: 1-line block ×3, first 2 shown]
	global_load_dword v72, v[66:67], off offset:364
	ds_read_u16 v73, v25
	ds_read_u16 v74, v25 offset:216
	ds_read_u16 v75, v25 offset:432
	;; [unrolled: 1-line block ×6, first 2 shown]
	v_lshlrev_b32_e32 v18, 1, v18
	s_waitcnt vmcnt(4) lgkmcnt(7)
	v_mul_f16_sdwa v66, v71, v0 dst_sel:DWORD dst_unused:UNUSED_PAD src0_sel:DWORD src1_sel:WORD_1
	v_fma_f16 v78, v60, v0, v66
	v_mul_u32_u24_sdwa v66, v26, s6 dst_sel:DWORD dst_unused:UNUSED_PAD src0_sel:WORD_0 src1_sel:DWORD
	v_lshrrev_b32_e32 v81, 20, v66
	v_mul_lo_u16_e32 v66, 0x5a, v81
	v_sub_u16_e32 v82, v26, v66
	v_mul_u32_u24_e32 v66, 5, v82
	v_lshlrev_b32_e32 v83, 2, v66
	global_load_dwordx4 v[66:69], v83, s[12:13] offset:348
	ds_read_u16 v84, v25 offset:3240
	ds_read_u16 v85, v25 offset:3024
	;; [unrolled: 1-line block ×4, first 2 shown]
	v_mul_f16_sdwa v60, v60, v0 dst_sel:DWORD dst_unused:UNUSED_PAD src0_sel:DWORD src1_sel:WORD_1
	v_fma_f16 v0, v71, v0, -v60
	ds_read_u16 v60, v25 offset:1728
	ds_read_u16 v71, v25 offset:1944
	s_movk_i32 s6, 0x59
	s_waitcnt lgkmcnt(2)
	v_mul_f16_sdwa v88, v87, v1 dst_sel:DWORD dst_unused:UNUSED_PAD src0_sel:DWORD src1_sel:WORD_1
	v_fma_f16 v88, v61, v1, v88
	v_mul_f16_sdwa v61, v61, v1 dst_sel:DWORD dst_unused:UNUSED_PAD src0_sel:DWORD src1_sel:WORD_1
	v_fma_f16 v1, v87, v1, -v61
	v_mul_f16_sdwa v61, v84, v2 dst_sel:DWORD dst_unused:UNUSED_PAD src0_sel:DWORD src1_sel:WORD_1
	v_fma_f16 v61, v59, v2, v61
	v_mul_f16_sdwa v59, v59, v2 dst_sel:DWORD dst_unused:UNUSED_PAD src0_sel:DWORD src1_sel:WORD_1
	v_fma_f16 v2, v84, v2, -v59
	ds_read_u16 v59, v25 offset:4320
	ds_read_u16 v84, v25 offset:4536
	;; [unrolled: 1-line block ×8, first 2 shown]
	s_waitcnt lgkmcnt(7)
	v_mul_f16_sdwa v94, v59, v3 dst_sel:DWORD dst_unused:UNUSED_PAD src0_sel:DWORD src1_sel:WORD_1
	global_load_dword v62, v62, s[12:13] offset:364
	v_fma_f16 v94, v58, v3, v94
	v_mul_f16_sdwa v58, v58, v3 dst_sel:DWORD dst_unused:UNUSED_PAD src0_sel:DWORD src1_sel:WORD_1
	v_fma_f16 v3, v59, v3, -v58
	global_load_dword v59, v63, s[12:13] offset:364
	s_waitcnt vmcnt(6)
	v_mul_f16_sdwa v58, v70, v4 dst_sel:DWORD dst_unused:UNUSED_PAD src0_sel:DWORD src1_sel:WORD_1
	v_fma_f16 v58, v56, v4, v58
	v_mul_f16_sdwa v56, v56, v4 dst_sel:DWORD dst_unused:UNUSED_PAD src0_sel:DWORD src1_sel:WORD_1
	v_fma_f16 v4, v70, v4, -v56
	global_load_dword v56, v65, s[12:13] offset:364
	v_mul_f16_sdwa v63, v86, v5 dst_sel:DWORD dst_unused:UNUSED_PAD src0_sel:DWORD src1_sel:WORD_1
	global_load_dword v65, v83, s[12:13] offset:364
	v_fma_f16 v63, v57, v5, v63
	v_mul_f16_sdwa v57, v57, v5 dst_sel:DWORD dst_unused:UNUSED_PAD src0_sel:DWORD src1_sel:WORD_1
	v_fma_f16 v5, v86, v5, -v57
	s_waitcnt lgkmcnt(3)
	v_mul_f16_sdwa v57, v90, v6 dst_sel:DWORD dst_unused:UNUSED_PAD src0_sel:DWORD src1_sel:WORD_1
	v_fma_f16 v57, v54, v6, v57
	v_mul_f16_sdwa v54, v54, v6 dst_sel:DWORD dst_unused:UNUSED_PAD src0_sel:DWORD src1_sel:WORD_1
	v_fma_f16 v6, v90, v6, -v54
	v_mul_f16_sdwa v54, v84, v7 dst_sel:DWORD dst_unused:UNUSED_PAD src0_sel:DWORD src1_sel:WORD_1
	v_fma_f16 v54, v55, v7, v54
	v_mul_f16_sdwa v55, v55, v7 dst_sel:DWORD dst_unused:UNUSED_PAD src0_sel:DWORD src1_sel:WORD_1
	v_fma_f16 v7, v84, v7, -v55
	s_waitcnt vmcnt(7)
	v_mul_f16_sdwa v55, v64, v8 dst_sel:DWORD dst_unused:UNUSED_PAD src0_sel:DWORD src1_sel:WORD_1
	v_fma_f16 v55, v50, v8, v55
	v_mul_f16_sdwa v50, v50, v8 dst_sel:DWORD dst_unused:UNUSED_PAD src0_sel:DWORD src1_sel:WORD_1
	v_fma_f16 v8, v64, v8, -v50
	v_mul_f16_sdwa v50, v79, v9 dst_sel:DWORD dst_unused:UNUSED_PAD src0_sel:DWORD src1_sel:WORD_1
	v_fma_f16 v50, v53, v9, v50
	v_mul_f16_sdwa v53, v53, v9 dst_sel:DWORD dst_unused:UNUSED_PAD src0_sel:DWORD src1_sel:WORD_1
	v_fma_f16 v9, v79, v9, -v53
	s_waitcnt lgkmcnt(2)
	v_mul_f16_sdwa v53, v91, v10 dst_sel:DWORD dst_unused:UNUSED_PAD src0_sel:DWORD src1_sel:WORD_1
	v_fma_f16 v53, v52, v10, v53
	v_mul_f16_sdwa v52, v52, v10 dst_sel:DWORD dst_unused:UNUSED_PAD src0_sel:DWORD src1_sel:WORD_1
	v_fma_f16 v10, v91, v10, -v52
	v_mul_f16_sdwa v52, v87, v11 dst_sel:DWORD dst_unused:UNUSED_PAD src0_sel:DWORD src1_sel:WORD_1
	v_fma_f16 v52, v51, v11, v52
	v_mul_f16_sdwa v51, v51, v11 dst_sel:DWORD dst_unused:UNUSED_PAD src0_sel:DWORD src1_sel:WORD_1
	v_fma_f16 v11, v87, v11, -v51
	s_waitcnt vmcnt(6)
	v_mul_f16_sdwa v51, v60, v12 dst_sel:DWORD dst_unused:UNUSED_PAD src0_sel:DWORD src1_sel:WORD_1
	v_fma_f16 v51, v48, v12, v51
	v_mul_f16_sdwa v48, v48, v12 dst_sel:DWORD dst_unused:UNUSED_PAD src0_sel:DWORD src1_sel:WORD_1
	v_fma_f16 v12, v60, v12, -v48
	v_mul_f16_sdwa v48, v80, v13 dst_sel:DWORD dst_unused:UNUSED_PAD src0_sel:DWORD src1_sel:WORD_1
	v_fma_f16 v48, v47, v13, v48
	v_mul_f16_sdwa v47, v47, v13 dst_sel:DWORD dst_unused:UNUSED_PAD src0_sel:DWORD src1_sel:WORD_1
	v_fma_f16 v13, v80, v13, -v47
	s_waitcnt lgkmcnt(1)
	v_mul_f16_sdwa v47, v92, v14 dst_sel:DWORD dst_unused:UNUSED_PAD src0_sel:DWORD src1_sel:WORD_1
	v_fma_f16 v47, v45, v14, v47
	v_mul_f16_sdwa v45, v45, v14 dst_sel:DWORD dst_unused:UNUSED_PAD src0_sel:DWORD src1_sel:WORD_1
	v_fma_f16 v14, v92, v14, -v45
	v_mul_f16_sdwa v45, v89, v15 dst_sel:DWORD dst_unused:UNUSED_PAD src0_sel:DWORD src1_sel:WORD_1
	v_fma_f16 v45, v44, v15, v45
	v_mul_f16_sdwa v44, v44, v15 dst_sel:DWORD dst_unused:UNUSED_PAD src0_sel:DWORD src1_sel:WORD_1
	v_fma_f16 v15, v89, v15, -v44
	v_cmp_lt_u32_e32 vcc, s6, v24
	s_waitcnt vmcnt(4)
	v_mul_f16_sdwa v44, v71, v66 dst_sel:DWORD dst_unused:UNUSED_PAD src0_sel:DWORD src1_sel:WORD_1
	v_mul_f16_sdwa v60, v85, v67 dst_sel:DWORD dst_unused:UNUSED_PAD src0_sel:DWORD src1_sel:WORD_1
	s_waitcnt lgkmcnt(0)
	v_mul_f16_sdwa v64, v93, v68 dst_sel:DWORD dst_unused:UNUSED_PAD src0_sel:DWORD src1_sel:WORD_1
	v_fma_f16 v44, v49, v66, v44
	v_mul_f16_sdwa v49, v49, v66 dst_sel:DWORD dst_unused:UNUSED_PAD src0_sel:DWORD src1_sel:WORD_1
	v_fma_f16 v60, v42, v67, v60
	;; [unrolled: 2-line block ×3, first 2 shown]
	v_mul_f16_sdwa v46, v46, v68 dst_sel:DWORD dst_unused:UNUSED_PAD src0_sel:DWORD src1_sel:WORD_1
	v_fma_f16 v49, v71, v66, -v49
	v_fma_f16 v42, v85, v67, -v42
	;; [unrolled: 1-line block ×3, first 2 shown]
	ds_read_u16 v66, v25 offset:5184
	ds_read_u16 v67, v25 offset:5400
	;; [unrolled: 1-line block ×6, first 2 shown]
	s_waitcnt lgkmcnt(5)
	v_mul_f16_sdwa v80, v66, v69 dst_sel:DWORD dst_unused:UNUSED_PAD src0_sel:DWORD src1_sel:WORD_1
	v_fma_f16 v80, v43, v69, v80
	v_mul_f16_sdwa v43, v43, v69 dst_sel:DWORD dst_unused:UNUSED_PAD src0_sel:DWORD src1_sel:WORD_1
	v_fma_f16 v43, v66, v69, -v43
	s_waitcnt lgkmcnt(4)
	v_mul_f16_sdwa v66, v67, v72 dst_sel:DWORD dst_unused:UNUSED_PAD src0_sel:DWORD src1_sel:WORD_1
	v_fma_f16 v66, v41, v72, v66
	v_mul_f16_sdwa v41, v41, v72 dst_sel:DWORD dst_unused:UNUSED_PAD src0_sel:DWORD src1_sel:WORD_1
	v_fma_f16 v41, v67, v72, -v41
	s_waitcnt vmcnt(3) lgkmcnt(3)
	v_mul_f16_sdwa v67, v68, v62 dst_sel:DWORD dst_unused:UNUSED_PAD src0_sel:DWORD src1_sel:WORD_1
	v_fma_f16 v67, v40, v62, v67
	v_mul_f16_sdwa v40, v40, v62 dst_sel:DWORD dst_unused:UNUSED_PAD src0_sel:DWORD src1_sel:WORD_1
	v_fma_f16 v40, v68, v62, -v40
	s_waitcnt vmcnt(2) lgkmcnt(2)
	;; [unrolled: 5-line block ×4, first 2 shown]
	v_mul_f16_sdwa v56, v79, v65 dst_sel:DWORD dst_unused:UNUSED_PAD src0_sel:DWORD src1_sel:WORD_1
	v_fma_f16 v56, v37, v65, v56
	v_mul_f16_sdwa v37, v37, v65 dst_sel:DWORD dst_unused:UNUSED_PAD src0_sel:DWORD src1_sel:WORD_1
	v_fma_f16 v37, v79, v65, -v37
	v_add_f16_e32 v65, v88, v94
	v_fma_f16 v65, v65, -0.5, v36
	v_sub_f16_e32 v68, v1, v3
	v_fma_f16 v69, v68, s4, v65
	v_fma_f16 v65, v68, s5, v65
	v_add_f16_e32 v68, v73, v1
	v_add_f16_e32 v1, v1, v3
	;; [unrolled: 1-line block ×4, first 2 shown]
	v_fma_f16 v1, v1, -0.5, v73
	v_sub_f16_e32 v36, v88, v94
	v_fma_f16 v70, v36, s5, v1
	v_fma_f16 v1, v36, s4, v1
	v_add_f16_e32 v36, v61, v66
	v_fma_f16 v36, v36, -0.5, v78
	v_sub_f16_e32 v71, v2, v41
	v_fma_f16 v72, v71, s4, v36
	v_fma_f16 v36, v71, s5, v36
	v_add_f16_e32 v71, v0, v2
	v_add_f16_e32 v2, v2, v41
	v_fma_f16 v0, v2, -0.5, v0
	v_sub_f16_e32 v2, v61, v66
	v_add_f16_e32 v71, v71, v41
	v_add_f16_e32 v41, v78, v61
	v_fma_f16 v61, v2, s5, v0
	v_add_f16_e32 v41, v41, v66
	v_fma_f16 v0, v2, s4, v0
	v_mul_f16_e32 v66, 0xbaee, v61
	v_mul_f16_e32 v61, 0.5, v61
	v_fma_f16 v66, v72, 0.5, v66
	v_fma_f16 v61, v72, s5, v61
	v_mul_f16_e32 v72, 0xbaee, v0
	v_mul_f16_e32 v0, -0.5, v0
	v_fma_f16 v0, v36, s5, v0
	v_add_f16_e32 v3, v3, v94
	v_fma_f16 v72, v36, -0.5, v72
	v_add_f16_e32 v36, v69, v66
	v_sub_f16_e32 v66, v69, v66
	v_add_f16_e32 v69, v68, v71
	v_sub_f16_e32 v68, v68, v71
	v_add_f16_e32 v71, v1, v0
	v_sub_f16_e32 v0, v1, v0
	v_add_f16_e32 v1, v63, v54
	v_add_f16_e32 v2, v3, v41
	v_sub_f16_e32 v3, v3, v41
	v_add_f16_e32 v41, v65, v72
	v_sub_f16_e32 v65, v65, v72
	;; [unrolled: 2-line block ×3, first 2 shown]
	v_fma_f16 v1, v1, -0.5, v35
	v_sub_f16_e32 v70, v5, v7
	v_fma_f16 v73, v70, s4, v1
	v_fma_f16 v1, v70, s5, v1
	v_add_f16_e32 v70, v74, v5
	v_add_f16_e32 v5, v5, v7
	;; [unrolled: 1-line block ×3, first 2 shown]
	v_fma_f16 v5, v5, -0.5, v74
	v_add_f16_e32 v7, v35, v63
	v_sub_f16_e32 v35, v63, v54
	v_add_f16_e32 v7, v7, v54
	v_fma_f16 v54, v35, s5, v5
	v_fma_f16 v5, v35, s4, v5
	v_add_f16_e32 v35, v57, v67
	v_fma_f16 v35, v35, -0.5, v58
	v_sub_f16_e32 v63, v6, v40
	v_fma_f16 v74, v63, s4, v35
	v_fma_f16 v35, v63, s5, v35
	v_add_f16_e32 v63, v4, v6
	v_add_f16_e32 v6, v6, v40
	;; [unrolled: 1-line block ×3, first 2 shown]
	v_fma_f16 v4, v6, -0.5, v4
	v_sub_f16_e32 v40, v57, v67
	v_add_f16_e32 v6, v58, v57
	v_fma_f16 v57, v40, s5, v4
	v_fma_f16 v4, v40, s4, v4
	v_mul_f16_e32 v40, 0xbaee, v57
	v_mul_f16_e32 v57, 0.5, v57
	v_mul_f16_e32 v58, 0xbaee, v4
	v_mul_f16_e32 v4, -0.5, v4
	v_add_f16_e32 v6, v6, v67
	v_fma_f16 v40, v74, 0.5, v40
	v_fma_f16 v57, v74, s5, v57
	v_fma_f16 v58, v35, -0.5, v58
	v_fma_f16 v4, v35, s5, v4
	v_add_f16_e32 v35, v7, v6
	v_sub_f16_e32 v6, v7, v6
	v_add_f16_e32 v7, v73, v40
	v_sub_f16_e32 v40, v73, v40
	;; [unrolled: 2-line block ×6, first 2 shown]
	v_add_f16_e32 v4, v50, v52
	v_fma_f16 v4, v4, -0.5, v33
	v_sub_f16_e32 v5, v9, v11
	v_fma_f16 v74, v5, s4, v4
	v_fma_f16 v4, v5, s5, v4
	v_add_f16_e32 v5, v75, v9
	v_add_f16_e32 v9, v9, v11
	v_add_f16_e32 v5, v5, v11
	v_fma_f16 v9, v9, -0.5, v75
	v_add_f16_e32 v11, v33, v50
	v_sub_f16_e32 v33, v50, v52
	v_fma_f16 v50, v33, s5, v9
	v_fma_f16 v9, v33, s4, v9
	v_add_f16_e32 v33, v53, v62
	v_add_f16_e32 v11, v11, v52
	v_fma_f16 v33, v33, -0.5, v55
	v_sub_f16_e32 v52, v10, v39
	v_fma_f16 v75, v52, s4, v33
	v_fma_f16 v33, v52, s5, v33
	v_add_f16_e32 v52, v8, v10
	v_add_f16_e32 v10, v10, v39
	;; [unrolled: 1-line block ×3, first 2 shown]
	v_fma_f16 v8, v10, -0.5, v8
	v_sub_f16_e32 v39, v53, v62
	v_add_f16_e32 v10, v55, v53
	v_fma_f16 v53, v39, s5, v8
	v_fma_f16 v8, v39, s4, v8
	v_mul_f16_e32 v55, 0xbaee, v8
	v_mul_f16_e32 v39, 0xbaee, v53
	v_mul_f16_e32 v53, 0.5, v53
	v_fma_f16 v55, v33, -0.5, v55
	v_mul_f16_e32 v8, -0.5, v8
	v_add_f16_e32 v10, v10, v62
	v_fma_f16 v39, v75, 0.5, v39
	v_fma_f16 v53, v75, s5, v53
	v_fma_f16 v8, v33, s5, v8
	v_add_f16_e32 v62, v4, v55
	v_sub_f16_e32 v4, v4, v55
	v_add_f16_e32 v55, v5, v52
	v_sub_f16_e32 v52, v5, v52
	v_add_f16_e32 v5, v48, v45
	v_add_f16_e32 v33, v11, v10
	v_sub_f16_e32 v10, v11, v10
	v_add_f16_e32 v11, v74, v39
	v_sub_f16_e32 v39, v74, v39
	v_add_f16_e32 v74, v50, v53
	v_sub_f16_e32 v50, v50, v53
	v_add_f16_e32 v53, v9, v8
	v_sub_f16_e32 v75, v9, v8
	v_fma_f16 v5, v5, -0.5, v19
	v_sub_f16_e32 v8, v13, v15
	v_fma_f16 v9, v8, s4, v5
	v_fma_f16 v5, v8, s5, v5
	v_add_f16_e32 v8, v76, v13
	v_add_f16_e32 v13, v13, v15
	;; [unrolled: 1-line block ×3, first 2 shown]
	v_fma_f16 v13, v13, -0.5, v76
	v_add_f16_e32 v15, v19, v48
	v_sub_f16_e32 v19, v48, v45
	v_add_f16_e32 v15, v15, v45
	v_fma_f16 v45, v19, s5, v13
	v_fma_f16 v13, v19, s4, v13
	v_add_f16_e32 v19, v47, v59
	v_fma_f16 v19, v19, -0.5, v51
	v_sub_f16_e32 v48, v14, v38
	v_fma_f16 v76, v48, s4, v19
	v_fma_f16 v19, v48, s5, v19
	v_add_f16_e32 v48, v12, v14
	v_add_f16_e32 v14, v14, v38
	;; [unrolled: 1-line block ×3, first 2 shown]
	v_fma_f16 v12, v14, -0.5, v12
	v_sub_f16_e32 v38, v47, v59
	v_add_f16_e32 v14, v51, v47
	v_fma_f16 v47, v38, s5, v12
	v_fma_f16 v12, v38, s4, v12
	v_mul_f16_e32 v38, 0xbaee, v47
	v_mul_f16_e32 v51, 0xbaee, v12
	v_add_f16_e32 v14, v14, v59
	v_fma_f16 v38, v76, 0.5, v38
	v_mul_f16_e32 v47, 0.5, v47
	v_fma_f16 v51, v19, -0.5, v51
	v_mul_f16_e32 v12, -0.5, v12
	v_fma_f16 v47, v76, s5, v47
	v_fma_f16 v12, v19, s5, v12
	v_add_f16_e32 v19, v15, v14
	v_sub_f16_e32 v14, v15, v14
	v_add_f16_e32 v15, v9, v38
	v_sub_f16_e32 v9, v9, v38
	;; [unrolled: 2-line block ×4, first 2 shown]
	v_add_f16_e32 v8, v60, v80
	v_add_f16_e32 v59, v45, v47
	v_sub_f16_e32 v45, v45, v47
	v_add_f16_e32 v47, v13, v12
	v_sub_f16_e32 v76, v13, v12
	v_fma_f16 v8, v8, -0.5, v17
	v_sub_f16_e32 v12, v42, v43
	v_fma_f16 v13, v12, s4, v8
	v_fma_f16 v8, v12, s5, v8
	v_add_f16_e32 v12, v77, v42
	v_add_f16_e32 v42, v42, v43
	;; [unrolled: 1-line block ×3, first 2 shown]
	v_fma_f16 v42, v42, -0.5, v77
	v_sub_f16_e32 v43, v60, v80
	v_add_f16_e32 v17, v17, v60
	v_fma_f16 v60, v43, s5, v42
	v_fma_f16 v42, v43, s4, v42
	v_add_f16_e32 v43, v64, v56
	v_fma_f16 v43, v43, -0.5, v44
	v_sub_f16_e32 v77, v46, v37
	v_fma_f16 v78, v77, s4, v43
	v_fma_f16 v43, v77, s5, v43
	v_add_f16_e32 v77, v49, v46
	v_add_f16_e32 v77, v77, v37
	;; [unrolled: 1-line block ×3, first 2 shown]
	v_fma_f16 v37, v37, -0.5, v49
	v_sub_f16_e32 v46, v64, v56
	v_add_f16_e32 v44, v44, v64
	v_fma_f16 v49, v46, s5, v37
	v_fma_f16 v37, v46, s4, v37
	v_add_f16_e32 v44, v44, v56
	v_mul_f16_e32 v46, 0xbaee, v49
	v_mul_f16_e32 v56, 0xbaee, v37
	v_add_f16_e32 v17, v17, v80
	v_fma_f16 v46, v78, 0.5, v46
	v_fma_f16 v56, v43, -0.5, v56
	v_mul_f16_e32 v37, -0.5, v37
	v_fma_f16 v37, v43, s5, v37
	v_add_f16_e32 v43, v17, v44
	v_sub_f16_e32 v17, v17, v44
	v_add_f16_e32 v44, v13, v46
	v_sub_f16_e32 v13, v13, v46
	v_add_f16_e32 v46, v8, v56
	v_sub_f16_e32 v8, v8, v56
	v_add_f16_e32 v56, v12, v77
	v_sub_f16_e32 v64, v12, v77
	v_mov_b32_e32 v12, 0x438
	v_cndmask_b32_e32 v12, 0, v12, vcc
	v_add3_u32 v79, 0, v12, v18
	s_barrier
	ds_write_b16 v79, v2
	ds_write_b16 v79, v36 offset:180
	ds_write_b16 v79, v41 offset:360
	;; [unrolled: 1-line block ×5, first 2 shown]
	v_mul_u32_u24_e32 v2, 0x438, v31
	v_lshlrev_b32_sdwa v3, v27, v30 dst_sel:DWORD dst_unused:UNUSED_PAD src0_sel:DWORD src1_sel:BYTE_0
	v_add3_u32 v36, 0, v2, v3
	ds_write_b16 v36, v35
	ds_write_b16 v36, v7 offset:180
	ds_write_b16 v36, v67 offset:360
	;; [unrolled: 1-line block ×5, first 2 shown]
	v_mul_u32_u24_e32 v1, 0x438, v32
	v_lshlrev_b32_e32 v2, 1, v29
	v_add3_u32 v1, 0, v1, v2
	v_mul_u32_u24_e32 v2, 0x438, v34
	v_lshlrev_b32_e32 v3, 1, v28
	v_mul_f16_e32 v49, 0.5, v49
	ds_write_b16 v1, v33
	ds_write_b16 v1, v11 offset:180
	ds_write_b16 v1, v62 offset:360
	;; [unrolled: 1-line block ×5, first 2 shown]
	v_add3_u32 v39, 0, v2, v3
	v_mul_u32_u24_e32 v2, 0x438, v81
	v_lshlrev_b32_e32 v3, 1, v82
	v_fma_f16 v49, v78, s5, v49
	ds_write_b16 v39, v19
	ds_write_b16 v39, v15 offset:180
	ds_write_b16 v39, v38 offset:360
	;; [unrolled: 1-line block ×5, first 2 shown]
	v_add3_u32 v15, 0, v2, v3
	v_add_f16_e32 v77, v60, v49
	v_sub_f16_e32 v49, v60, v49
	v_add_f16_e32 v60, v42, v37
	v_sub_f16_e32 v78, v42, v37
	ds_write_b16 v15, v43
	ds_write_b16 v15, v44 offset:180
	ds_write_b16 v15, v46 offset:360
	;; [unrolled: 1-line block ×5, first 2 shown]
	s_waitcnt lgkmcnt(0)
	s_barrier
	ds_read_u16 v17, v25 offset:1512
	ds_read_u16 v2, v25
	ds_read_u16 v5, v25 offset:216
	ds_read_u16 v13, v25 offset:432
	;; [unrolled: 1-line block ×28, first 2 shown]
	s_waitcnt lgkmcnt(0)
	s_barrier
	ds_write_b16 v79, v69
	ds_write_b16 v79, v72 offset:180
	ds_write_b16 v79, v71 offset:360
	ds_write_b16 v79, v68 offset:540
	ds_write_b16 v79, v61 offset:720
	ds_write_b16 v79, v0 offset:900
	ds_write_b16 v36, v58
	ds_write_b16 v36, v70 offset:180
	ds_write_b16 v36, v57 offset:360
	ds_write_b16 v36, v63 offset:540
	ds_write_b16 v36, v54 offset:720
	ds_write_b16 v36, v73 offset:900
	;; [unrolled: 6-line block ×5, first 2 shown]
	s_waitcnt lgkmcnt(0)
	s_barrier
	s_and_saveexec_b64 s[6:7], s[0:1]
	s_cbranch_execz .LBB0_15
; %bb.14:
	v_mul_u32_u24_e32 v0, 5, v26
	v_lshlrev_b32_e32 v0, 2, v0
	global_load_dwordx4 v[45:48], v0, s[12:13] offset:2148
	global_load_dword v36, v0, s[12:13] offset:2164
	v_mov_b32_e32 v15, 0xfffffde4
	v_mad_u32_u24 v15, v26, 5, v15
	v_mul_lo_u32 v38, s3, v22
	v_mul_lo_u32 v39, s2, v23
	v_mad_u64_u32 v[0:1], s[0:1], s2, v22, 0
	v_lshlrev_b64 v[22:23], 2, v[15:16]
	v_mov_b32_e32 v59, s13
	v_add_co_u32_e32 v22, vcc, s12, v22
	v_addc_co_u32_e32 v23, vcc, v59, v23, vcc
	ds_read_u16 v41, v25 offset:5184
	ds_read_u16 v55, v25 offset:1512
	;; [unrolled: 1-line block ×20, first 2 shown]
	global_load_dwordx4 v[49:52], v[22:23], off offset:2148
	ds_read_u16 v15, v25 offset:6264
	ds_read_u16 v73, v25 offset:6048
	;; [unrolled: 1-line block ×5, first 2 shown]
	global_load_dword v77, v[22:23], off offset:2164
	v_add3_u32 v1, v1, v39, v38
	s_mov_b32 s0, 0xf2b9d649
	v_lshlrev_b64 v[0:1], 2, v[0:1]
	s_movk_i32 s1, 0x1000
	s_waitcnt vmcnt(3)
	v_mul_f16_sdwa v22, v19, v46 dst_sel:DWORD dst_unused:UNUSED_PAD src0_sel:DWORD src1_sel:WORD_1
	v_mul_f16_sdwa v23, v35, v48 dst_sel:DWORD dst_unused:UNUSED_PAD src0_sel:DWORD src1_sel:WORD_1
	s_waitcnt lgkmcnt(14)
	v_mul_f16_sdwa v38, v54, v46 dst_sel:DWORD dst_unused:UNUSED_PAD src0_sel:DWORD src1_sel:WORD_1
	s_waitcnt lgkmcnt(6)
	v_mul_f16_sdwa v79, v47, v71 dst_sel:DWORD dst_unused:UNUSED_PAD src0_sel:WORD_1 src1_sel:DWORD
	s_waitcnt vmcnt(2) lgkmcnt(4)
	v_mul_f16_sdwa v80, v36, v15 dst_sel:DWORD dst_unused:UNUSED_PAD src0_sel:WORD_1 src1_sel:DWORD
	v_mul_f16_sdwa v81, v31, v47 dst_sel:DWORD dst_unused:UNUSED_PAD src0_sel:DWORD src1_sel:WORD_1
	v_mul_f16_sdwa v82, v34, v36 dst_sel:DWORD dst_unused:UNUSED_PAD src0_sel:DWORD src1_sel:WORD_1
	;; [unrolled: 1-line block ×3, first 2 shown]
	v_mul_f16_sdwa v78, v45, v65 dst_sel:DWORD dst_unused:UNUSED_PAD src0_sel:WORD_1 src1_sel:DWORD
	v_mul_f16_sdwa v83, v30, v45 dst_sel:DWORD dst_unused:UNUSED_PAD src0_sel:DWORD src1_sel:WORD_1
	v_fma_f16 v22, v46, v54, -v22
	v_fma_f16 v41, v48, v41, -v23
	v_fma_f16 v38, v19, v46, v38
	v_fma_f16 v46, v31, v47, v79
	;; [unrolled: 1-line block ×3, first 2 shown]
	v_fma_f16 v19, v47, v71, -v81
	v_fma_f16 v15, v36, v15, -v82
	v_fma_f16 v35, v35, v48, v39
	v_fma_f16 v39, v30, v45, v78
	v_fma_f16 v23, v45, v65, -v83
	v_add_f16_e32 v30, v22, v41
	v_add_f16_e32 v36, v46, v34
	;; [unrolled: 1-line block ×3, first 2 shown]
	v_sub_f16_e32 v31, v38, v35
	v_sub_f16_e32 v45, v19, v15
	;; [unrolled: 1-line block ×3, first 2 shown]
	v_add_f16_e32 v54, v53, v22
	v_add_f16_e32 v19, v23, v19
	v_fma_f16 v30, v30, -0.5, v53
	v_fma_f16 v36, v36, -0.5, v39
	;; [unrolled: 1-line block ×3, first 2 shown]
	v_add_f16_e32 v78, v38, v35
	v_add_f16_e32 v47, v54, v41
	;; [unrolled: 1-line block ×3, first 2 shown]
	v_fma_f16 v53, v31, s4, v30
	v_fma_f16 v54, v45, s5, v36
	;; [unrolled: 1-line block ×6, first 2 shown]
	v_fma_f16 v78, v78, -0.5, v33
	v_sub_f16_e32 v41, v22, v41
	v_add_f16_e32 v33, v33, v38
	v_sub_f16_e32 v30, v47, v15
	v_mul_f16_e32 v19, -0.5, v65
	v_mul_f16_e32 v23, 0.5, v36
	v_fma_f16 v79, v41, s5, v78
	v_fma_f16 v41, v41, s4, v78
	v_mul_f16_e32 v36, 0xbaee, v36
	v_add_f16_e32 v78, v33, v35
	v_add_f16_e32 v33, v39, v46
	;; [unrolled: 1-line block ×3, first 2 shown]
	v_mov_b32_e32 v15, 0xfffffbc8
	v_fma_f16 v45, v54, s5, v19
	v_mul_f16_e32 v22, 0xbaee, v65
	v_fma_f16 v65, v31, 0.5, v36
	v_add_f16_e32 v46, v33, v34
	v_mad_u32_u24 v15, v26, 5, v15
	v_fma_f16 v48, v31, s5, v23
	v_sub_f16_e32 v19, v53, v45
	v_sub_f16_e32 v31, v41, v65
	;; [unrolled: 1-line block ×3, first 2 shown]
	v_add_f16_e32 v34, v53, v45
	v_add_f16_e32 v38, v41, v65
	;; [unrolled: 1-line block ×3, first 2 shown]
	v_lshlrev_b64 v[45:46], 2, v[15:16]
	v_fma_f16 v54, v54, -0.5, v22
	v_add_co_u32_e32 v53, vcc, s12, v45
	v_sub_f16_e32 v22, v79, v54
	v_add_f16_e32 v35, v79, v54
	v_addc_co_u32_e32 v54, vcc, v59, v46, vcc
	v_sub_f16_e32 v23, v71, v48
	v_add_f16_e32 v36, v71, v48
	global_load_dwordx4 v[45:48], v[53:54], off offset:2148
	s_waitcnt vmcnt(2)
	v_mul_f16_sdwa v15, v42, v50 dst_sel:DWORD dst_unused:UNUSED_PAD src0_sel:DWORD src1_sel:WORD_1
	global_load_dword v53, v[53:54], off offset:2164
	v_fma_f16 v15, v50, v61, -v15
	v_mul_f16_sdwa v61, v61, v50 dst_sel:DWORD dst_unused:UNUSED_PAD src0_sel:DWORD src1_sel:WORD_1
	v_mul_f16_sdwa v79, v51, v72 dst_sel:DWORD dst_unused:UNUSED_PAD src0_sel:WORD_1 src1_sel:DWORD
	s_waitcnt vmcnt(2) lgkmcnt(3)
	v_mul_f16_sdwa v54, v77, v73 dst_sel:DWORD dst_unused:UNUSED_PAD src0_sel:WORD_1 src1_sel:DWORD
	v_fma_f16 v42, v42, v50, v61
	v_mul_f16_sdwa v61, v49, v66 dst_sel:DWORD dst_unused:UNUSED_PAD src0_sel:WORD_1 src1_sel:DWORD
	v_fma_f16 v79, v40, v51, v79
	v_fma_f16 v54, v44, v77, v54
	v_mul_f16_sdwa v40, v40, v51 dst_sel:DWORD dst_unused:UNUSED_PAD src0_sel:DWORD src1_sel:WORD_1
	v_mul_f16_sdwa v44, v44, v77 dst_sel:DWORD dst_unused:UNUSED_PAD src0_sel:DWORD src1_sel:WORD_1
	;; [unrolled: 1-line block ×3, first 2 shown]
	v_fma_f16 v61, v37, v49, v61
	v_fma_f16 v40, v51, v72, -v40
	v_fma_f16 v44, v77, v73, -v44
	v_mul_f16_sdwa v37, v37, v49 dst_sel:DWORD dst_unused:UNUSED_PAD src0_sel:DWORD src1_sel:WORD_1
	v_fma_f16 v65, v52, v67, -v65
	v_mul_f16_sdwa v50, v67, v52 dst_sel:DWORD dst_unused:UNUSED_PAD src0_sel:DWORD src1_sel:WORD_1
	v_fma_f16 v37, v49, v66, -v37
	v_add_f16_e32 v49, v40, v44
	v_add_f16_e32 v71, v15, v65
	v_fma_f16 v43, v43, v52, v50
	v_add_f16_e32 v80, v79, v54
	v_fma_f16 v49, v49, -0.5, v37
	v_sub_f16_e32 v66, v79, v54
	v_fma_f16 v71, v71, -0.5, v58
	v_sub_f16_e32 v50, v42, v43
	;; [unrolled: 2-line block ×3, first 2 shown]
	v_fma_f16 v73, v66, s4, v49
	v_fma_f16 v49, v66, s5, v49
	v_add_f16_e32 v37, v37, v40
	v_fma_f16 v52, v50, s4, v71
	v_fma_f16 v72, v51, s5, v80
	;; [unrolled: 1-line block ×4, first 2 shown]
	v_mul_f16_e32 v51, 0.5, v49
	v_add_f16_e32 v37, v37, v44
	v_add_f16_e32 v44, v42, v43
	v_fma_f16 v66, v50, s5, v51
	v_add_f16_e32 v51, v58, v15
	v_fma_f16 v44, v44, -0.5, v32
	v_sub_f16_e32 v15, v15, v65
	v_add_f16_e32 v58, v51, v65
	v_fma_f16 v65, v15, s5, v44
	v_fma_f16 v44, v15, s4, v44
	v_mul_f16_e32 v15, 0xbaee, v49
	v_fma_f16 v82, v50, 0.5, v15
	v_add_f16_e32 v15, v32, v42
	v_add_f16_e32 v32, v15, v43
	;; [unrolled: 1-line block ×4, first 2 shown]
	v_mov_b32_e32 v15, 0xfffff9ac
	ds_read_u16 v67, v25 offset:3672
	v_mad_u32_u24 v15, v26, 5, v15
	v_lshlrev_b64 v[42:43], 2, v[15:16]
	v_mul_f16_e32 v77, -0.5, v73
	v_add_co_u32_e32 v42, vcc, s12, v42
	v_fma_f16 v77, v72, s5, v77
	v_mul_f16_e32 v51, 0xbaee, v73
	v_addc_co_u32_e32 v43, vcc, v59, v43, vcc
	ds_read_u16 v78, v25 offset:432
	v_sub_f16_e32 v81, v52, v77
	v_sub_f16_e32 v80, v71, v66
	v_fma_f16 v72, v72, -0.5, v51
	v_add_f16_e32 v77, v52, v77
	global_load_dwordx4 v[49:52], v[42:43], off offset:2148
	v_add_f16_e32 v59, v71, v66
	global_load_dword v42, v[42:43], off offset:2164
	v_sub_f16_e32 v40, v58, v37
	v_sub_f16_e32 v73, v65, v72
	v_add_f16_e32 v37, v58, v37
	v_add_f16_e32 v58, v65, v72
	v_sub_f16_e32 v61, v32, v54
	v_add_f16_e32 v32, v32, v54
	v_sub_f16_e32 v83, v44, v82
	s_waitcnt vmcnt(3)
	v_mul_f16_sdwa v15, v27, v46 dst_sel:DWORD dst_unused:UNUSED_PAD src0_sel:DWORD src1_sel:WORD_1
	v_fma_f16 v15, v46, v62, -v15
	v_mul_f16_sdwa v26, v28, v48 dst_sel:DWORD dst_unused:UNUSED_PAD src0_sel:DWORD src1_sel:WORD_1
	v_mul_f16_sdwa v62, v62, v46 dst_sel:DWORD dst_unused:UNUSED_PAD src0_sel:DWORD src1_sel:WORD_1
	v_fma_f16 v26, v48, v68, -v26
	v_fma_f16 v27, v27, v46, v62
	ds_read_u16 v62, v25 offset:3456
	v_mul_f16_sdwa v46, v68, v48 dst_sel:DWORD dst_unused:UNUSED_PAD src0_sel:DWORD src1_sel:WORD_1
	s_waitcnt lgkmcnt(2)
	v_mul_f16_sdwa v66, v47, v67 dst_sel:DWORD dst_unused:UNUSED_PAD src0_sel:WORD_1 src1_sel:DWORD
	s_waitcnt vmcnt(2)
	v_mul_f16_sdwa v68, v53, v74 dst_sel:DWORD dst_unused:UNUSED_PAD src0_sel:WORD_1 src1_sel:DWORD
	v_fma_f16 v28, v28, v48, v46
	v_mul_f16_sdwa v48, v45, v55 dst_sel:DWORD dst_unused:UNUSED_PAD src0_sel:WORD_1 src1_sel:DWORD
	v_fma_f16 v66, v18, v47, v66
	v_fma_f16 v68, v29, v53, v68
	v_mul_f16_sdwa v18, v18, v47 dst_sel:DWORD dst_unused:UNUSED_PAD src0_sel:DWORD src1_sel:WORD_1
	v_mul_f16_sdwa v29, v29, v53 dst_sel:DWORD dst_unused:UNUSED_PAD src0_sel:DWORD src1_sel:WORD_1
	v_fma_f16 v48, v17, v45, v48
	v_fma_f16 v18, v47, v67, -v18
	v_fma_f16 v29, v53, v74, -v29
	v_mul_f16_sdwa v17, v17, v45 dst_sel:DWORD dst_unused:UNUSED_PAD src0_sel:DWORD src1_sel:WORD_1
	v_add_f16_e32 v71, v66, v68
	v_fma_f16 v17, v45, v55, -v17
	v_add_f16_e32 v45, v18, v29
	v_fma_f16 v71, v71, -0.5, v48
	v_sub_f16_e32 v47, v18, v29
	v_fma_f16 v45, v45, -0.5, v17
	v_sub_f16_e32 v55, v66, v68
	ds_read_u16 v65, v25 offset:216
	v_fma_f16 v53, v47, s5, v71
	v_fma_f16 v67, v55, s4, v45
	;; [unrolled: 1-line block ×3, first 2 shown]
	s_waitcnt lgkmcnt(2)
	v_add_f16_e32 v71, v78, v15
	v_add_f16_e32 v54, v15, v26
	v_mul_f16_e32 v72, -0.5, v67
	v_fma_f16 v45, v55, s5, v45
	v_add_f16_e32 v71, v71, v26
	v_sub_f16_e32 v15, v15, v26
	v_mul_f16_e32 v26, 0xbaee, v67
	v_fma_f16 v54, v54, -0.5, v78
	v_sub_f16_e32 v46, v27, v28
	v_fma_f16 v72, v53, s5, v72
	v_add_f16_e32 v17, v17, v18
	v_fma_f16 v53, v53, -0.5, v26
	v_mul_f16_e32 v26, 0xbaee, v45
	v_fma_f16 v43, v46, s4, v54
	v_fma_f16 v46, v46, s5, v54
	v_mul_f16_e32 v54, 0.5, v45
	v_add_f16_e32 v17, v17, v29
	v_add_f16_e32 v29, v27, v28
	v_fma_f16 v45, v47, 0.5, v26
	v_mul_u32_u24_e32 v26, 5, v24
	v_fma_f16 v29, v29, -0.5, v13
	v_add_f16_e32 v13, v13, v27
	v_lshlrev_b32_e32 v79, 2, v26
	v_add_f16_e32 v48, v48, v66
	v_fma_f16 v78, v15, s5, v29
	v_fma_f16 v15, v15, s4, v29
	v_add_f16_e32 v13, v13, v28
	global_load_dwordx4 v[26:29], v79, s[12:13] offset:2148
	v_add_f16_e32 v48, v48, v68
	global_load_dword v68, v79, s[12:13] offset:2164
	v_fma_f16 v54, v47, s5, v54
	v_sub_f16_e32 v47, v15, v45
	v_add_f16_e32 v45, v15, v45
	v_sub_f16_e32 v66, v13, v48
	v_add_f16_e32 v13, v13, v48
	;; [unrolled: 2-line block ×3, first 2 shown]
	v_sub_f16_e32 v74, v43, v72
	v_sub_f16_e32 v55, v46, v54
	s_waitcnt vmcnt(3)
	v_mul_f16_sdwa v15, v12, v50 dst_sel:DWORD dst_unused:UNUSED_PAD src0_sel:DWORD src1_sel:WORD_1
	v_fma_f16 v15, v50, v63, -v15
	v_mul_f16_sdwa v48, v14, v52 dst_sel:DWORD dst_unused:UNUSED_PAD src0_sel:DWORD src1_sel:WORD_1
	v_mul_f16_sdwa v63, v63, v50 dst_sel:DWORD dst_unused:UNUSED_PAD src0_sel:DWORD src1_sel:WORD_1
	v_fma_f16 v48, v52, v69, -v48
	v_fma_f16 v12, v12, v50, v63
	v_mul_f16_sdwa v50, v69, v52 dst_sel:DWORD dst_unused:UNUSED_PAD src0_sel:DWORD src1_sel:WORD_1
	s_waitcnt lgkmcnt(1)
	v_mul_f16_sdwa v69, v51, v62 dst_sel:DWORD dst_unused:UNUSED_PAD src0_sel:WORD_1 src1_sel:DWORD
	s_waitcnt vmcnt(2)
	v_mul_f16_sdwa v71, v42, v75 dst_sel:DWORD dst_unused:UNUSED_PAD src0_sel:WORD_1 src1_sel:DWORD
	v_mul_f16_sdwa v63, v49, v56 dst_sel:DWORD dst_unused:UNUSED_PAD src0_sel:WORD_1 src1_sel:DWORD
	v_fma_f16 v69, v10, v51, v69
	v_fma_f16 v71, v11, v42, v71
	v_mul_f16_sdwa v10, v10, v51 dst_sel:DWORD dst_unused:UNUSED_PAD src0_sel:DWORD src1_sel:WORD_1
	v_mul_f16_sdwa v11, v11, v42 dst_sel:DWORD dst_unused:UNUSED_PAD src0_sel:DWORD src1_sel:WORD_1
	v_fma_f16 v63, v9, v49, v63
	v_fma_f16 v10, v51, v62, -v10
	v_fma_f16 v11, v42, v75, -v11
	v_mul_f16_sdwa v9, v9, v49 dst_sel:DWORD dst_unused:UNUSED_PAD src0_sel:DWORD src1_sel:WORD_1
	v_fma_f16 v9, v49, v56, -v9
	v_add_f16_e32 v49, v10, v11
	v_add_f16_e32 v43, v43, v72
	v_add_f16_e32 v46, v46, v54
	v_add_f16_e32 v54, v15, v48
	v_fma_f16 v14, v14, v52, v50
	v_add_f16_e32 v72, v69, v71
	v_fma_f16 v49, v49, -0.5, v9
	v_sub_f16_e32 v56, v69, v71
	v_add_f16_e32 v9, v9, v10
	s_waitcnt lgkmcnt(0)
	v_fma_f16 v54, v54, -0.5, v65
	v_sub_f16_e32 v50, v12, v14
	v_fma_f16 v72, v72, -0.5, v63
	v_sub_f16_e32 v42, v10, v11
	v_fma_f16 v62, v56, s4, v49
	v_fma_f16 v49, v56, s5, v49
	v_add_f16_e32 v9, v9, v11
	v_add_f16_e32 v11, v12, v14
	v_fma_f16 v52, v50, s4, v54
	v_fma_f16 v51, v42, s5, v72
	v_mul_f16_e32 v75, -0.5, v62
	v_fma_f16 v50, v50, s5, v54
	v_fma_f16 v42, v42, s4, v72
	v_mul_f16_e32 v54, 0.5, v49
	v_add_f16_e32 v65, v65, v15
	v_fma_f16 v11, v11, -0.5, v5
	v_sub_f16_e32 v15, v15, v48
	ds_read_u16 v25, v25
	v_fma_f16 v75, v51, s5, v75
	v_fma_f16 v54, v42, s5, v54
	v_add_f16_e32 v65, v65, v48
	v_fma_f16 v48, v15, s5, v11
	v_fma_f16 v11, v15, s4, v11
	v_mul_f16_e32 v15, 0xbaee, v49
	v_add_f16_e32 v5, v5, v12
	v_add_f16_e32 v12, v63, v69
	v_sub_f16_e32 v67, v78, v53
	v_add_f16_e32 v53, v78, v53
	v_sub_f16_e32 v78, v52, v75
	v_sub_f16_e32 v56, v50, v54
	v_fma_f16 v15, v42, 0.5, v15
	v_add_f16_e32 v5, v5, v14
	v_add_f16_e32 v12, v12, v71
	;; [unrolled: 1-line block ×4, first 2 shown]
	v_mul_f16_e32 v62, 0xbaee, v62
	v_sub_f16_e32 v42, v11, v15
	v_sub_f16_e32 v14, v5, v12
	v_add_f16_e32 v11, v11, v15
	v_add_f16_e32 v5, v5, v12
	s_waitcnt vmcnt(1)
	v_mul_f16_sdwa v52, v64, v27 dst_sel:DWORD dst_unused:UNUSED_PAD src0_sel:DWORD src1_sel:WORD_1
	v_mul_f16_sdwa v54, v28, v60 dst_sel:DWORD dst_unused:UNUSED_PAD src0_sel:WORD_1 src1_sel:DWORD
	s_waitcnt vmcnt(0)
	v_mul_f16_sdwa v63, v68, v76 dst_sel:DWORD dst_unused:UNUSED_PAD src0_sel:WORD_1 src1_sel:DWORD
	v_mul_f16_sdwa v12, v7, v27 dst_sel:DWORD dst_unused:UNUSED_PAD src0_sel:DWORD src1_sel:WORD_1
	v_mul_f16_sdwa v15, v8, v29 dst_sel:DWORD dst_unused:UNUSED_PAD src0_sel:DWORD src1_sel:WORD_1
	v_fma_f16 v7, v7, v27, v52
	v_mul_f16_sdwa v52, v26, v57 dst_sel:DWORD dst_unused:UNUSED_PAD src0_sel:WORD_1 src1_sel:DWORD
	v_fma_f16 v54, v4, v28, v54
	v_fma_f16 v63, v6, v68, v63
	v_mul_f16_sdwa v4, v4, v28 dst_sel:DWORD dst_unused:UNUSED_PAD src0_sel:DWORD src1_sel:WORD_1
	v_mul_f16_sdwa v6, v6, v68 dst_sel:DWORD dst_unused:UNUSED_PAD src0_sel:DWORD src1_sel:WORD_1
	v_fma_f16 v51, v51, -0.5, v62
	v_fma_f16 v12, v27, v64, -v12
	v_fma_f16 v15, v29, v70, -v15
	v_fma_f16 v52, v3, v26, v52
	v_fma_f16 v4, v28, v60, -v4
	v_fma_f16 v6, v68, v76, -v6
	v_mul_f16_sdwa v3, v3, v26 dst_sel:DWORD dst_unused:UNUSED_PAD src0_sel:DWORD src1_sel:WORD_1
	v_sub_f16_e32 v62, v48, v51
	v_add_f16_e32 v48, v48, v51
	v_add_f16_e32 v51, v12, v15
	v_fma_f16 v3, v26, v57, -v3
	v_add_f16_e32 v26, v4, v6
	s_waitcnt lgkmcnt(0)
	v_fma_f16 v51, v51, -0.5, v25
	v_mul_f16_sdwa v27, v70, v29 dst_sel:DWORD dst_unused:UNUSED_PAD src0_sel:DWORD src1_sel:WORD_1
	v_fma_f16 v26, v26, -0.5, v3
	v_add_f16_e32 v25, v25, v12
	v_add_f16_e32 v3, v3, v4
	v_fma_f16 v8, v8, v29, v27
	v_add_f16_e32 v25, v25, v15
	v_add_f16_e32 v3, v3, v6
	;; [unrolled: 1-line block ×3, first 2 shown]
	v_sub_f16_e32 v28, v4, v6
	v_sub_f16_e32 v57, v54, v63
	;; [unrolled: 1-line block ×3, first 2 shown]
	v_add_f16_e32 v6, v7, v8
	v_add_f16_e32 v3, v25, v3
	v_mul_hi_u32 v25, v24, s0
	v_sub_f16_e32 v10, v65, v9
	v_add_f16_e32 v9, v65, v9
	v_fma_f16 v64, v64, -0.5, v52
	v_fma_f16 v65, v57, s4, v26
	v_fma_f16 v26, v57, s5, v26
	v_fma_f16 v6, v6, -0.5, v2
	v_sub_f16_e32 v12, v12, v15
	v_sub_f16_e32 v27, v7, v8
	v_fma_f16 v60, v28, s5, v64
	v_fma_f16 v28, v28, s4, v64
	;; [unrolled: 1-line block ×4, first 2 shown]
	v_mul_f16_e32 v12, 0xbaee, v26
	v_add_f16_e32 v2, v2, v7
	v_add_f16_e32 v7, v52, v54
	v_fma_f16 v12, v28, 0.5, v12
	v_add_f16_e32 v2, v2, v8
	v_add_f16_e32 v7, v7, v63
	v_fma_f16 v29, v27, s4, v51
	v_fma_f16 v27, v27, s5, v51
	v_mul_f16_e32 v51, 0.5, v26
	v_sub_f16_e32 v26, v6, v12
	v_sub_f16_e32 v8, v2, v7
	v_add_f16_e32 v6, v6, v12
	v_add_f16_e32 v2, v2, v7
	v_lshrrev_b32_e32 v7, 9, v25
	v_mov_b32_e32 v12, s11
	v_add_co_u32_e32 v25, vcc, s10, v0
	v_addc_co_u32_e32 v12, vcc, v12, v1, vcc
	v_lshlrev_b64 v[0:1], 2, v[20:21]
	v_mul_u32_u24_e32 v7, 0x21c, v7
	v_sub_u32_e32 v7, v24, v7
	v_add_co_u32_e32 v20, vcc, v25, v0
	v_addc_co_u32_e32 v12, vcc, v12, v1, vcc
	v_lshlrev_b32_e32 v0, 2, v7
	v_fma_f16 v51, v28, s5, v51
	v_add_co_u32_e32 v0, vcc, v20, v0
	v_mul_f16_e32 v68, -0.5, v65
	v_sub_f16_e32 v57, v27, v51
	v_mul_f16_e32 v64, 0xbaee, v65
	v_add_f16_e32 v27, v27, v51
	v_addc_co_u32_e32 v1, vcc, 0, v12, vcc
	v_pack_b32_f16 v2, v2, v3
	v_fma_f16 v68, v60, s5, v68
	v_fma_f16 v60, v60, -0.5, v64
	global_store_dword v[0:1], v2, off
	v_pack_b32_f16 v2, v6, v27
	v_sub_f16_e32 v64, v15, v60
	v_add_f16_e32 v28, v29, v68
	v_add_f16_e32 v15, v15, v60
	global_store_dword v[0:1], v2, off offset:2160
	v_add_co_u32_e32 v2, vcc, s1, v0
	v_pack_b32_f16 v6, v15, v28
	v_addc_co_u32_e32 v3, vcc, 0, v1, vcc
	v_pack_b32_f16 v4, v8, v4
	global_store_dword v[2:3], v6, off offset:224
	global_store_dword v[2:3], v4, off offset:2384
	v_add_u32_e32 v3, 0x6c, v24
	s_movk_i32 s1, 0x2000
	v_mul_hi_u32 v4, v3, s0
	v_add_co_u32_e32 v0, vcc, s1, v0
	v_sub_f16_e32 v69, v29, v68
	v_pack_b32_f16 v2, v26, v57
	v_addc_co_u32_e32 v1, vcc, 0, v1, vcc
	global_store_dword v[0:1], v2, off offset:448
	v_pack_b32_f16 v2, v64, v69
	global_store_dword v[0:1], v2, off offset:2608
	v_lshrrev_b32_e32 v0, 9, v4
	v_mul_u32_u24_e32 v1, 0x21c, v0
	v_sub_u32_e32 v1, v3, v1
	s_movk_i32 s1, 0xca8
	v_mad_u32_u24 v15, v0, s1, v1
	v_lshlrev_b64 v[0:1], 2, v[15:16]
	v_pack_b32_f16 v2, v5, v9
	v_add_co_u32_e32 v0, vcc, v20, v0
	v_addc_co_u32_e32 v1, vcc, v12, v1, vcc
	global_store_dword v[0:1], v2, off
	v_add_u32_e32 v0, 0x21c, v15
	v_mov_b32_e32 v1, v16
	v_lshlrev_b64 v[0:1], 2, v[0:1]
	v_pack_b32_f16 v2, v11, v50
	v_add_co_u32_e32 v0, vcc, v20, v0
	v_addc_co_u32_e32 v1, vcc, v12, v1, vcc
	global_store_dword v[0:1], v2, off
	v_add_u32_e32 v0, 0x438, v15
	v_mov_b32_e32 v1, v16
	;; [unrolled: 7-line block ×4, first 2 shown]
	v_lshlrev_b64 v[0:1], 2, v[0:1]
	v_pack_b32_f16 v2, v42, v56
	v_add_co_u32_e32 v0, vcc, v20, v0
	v_addc_co_u32_e32 v1, vcc, v12, v1, vcc
	global_store_dword v[0:1], v2, off
	v_add_u32_e32 v15, 0xa8c, v15
	v_add_u32_e32 v2, 0xd8, v24
	v_lshlrev_b64 v[0:1], 2, v[15:16]
	v_mul_hi_u32 v3, v2, s0
	v_add_co_u32_e32 v0, vcc, v20, v0
	v_addc_co_u32_e32 v1, vcc, v12, v1, vcc
	v_pack_b32_f16 v4, v62, v78
	global_store_dword v[0:1], v4, off
	v_lshrrev_b32_e32 v0, 9, v3
	v_mul_u32_u24_e32 v1, 0x21c, v0
	v_sub_u32_e32 v1, v2, v1
	v_mad_u32_u24 v15, v0, s1, v1
	v_lshlrev_b64 v[0:1], 2, v[15:16]
	v_pack_b32_f16 v2, v13, v17
	v_add_co_u32_e32 v0, vcc, v20, v0
	v_addc_co_u32_e32 v1, vcc, v12, v1, vcc
	global_store_dword v[0:1], v2, off
	v_add_u32_e32 v0, 0x21c, v15
	v_mov_b32_e32 v1, v16
	v_lshlrev_b64 v[0:1], 2, v[0:1]
	v_pack_b32_f16 v2, v45, v46
	v_add_co_u32_e32 v0, vcc, v20, v0
	v_addc_co_u32_e32 v1, vcc, v12, v1, vcc
	global_store_dword v[0:1], v2, off
	v_add_u32_e32 v0, 0x438, v15
	v_mov_b32_e32 v1, v16
	;; [unrolled: 7-line block ×4, first 2 shown]
	v_lshlrev_b64 v[0:1], 2, v[0:1]
	v_pack_b32_f16 v2, v47, v55
	v_add_co_u32_e32 v0, vcc, v20, v0
	v_addc_co_u32_e32 v1, vcc, v12, v1, vcc
	global_store_dword v[0:1], v2, off
	v_add_u32_e32 v15, 0xa8c, v15
	v_add_u32_e32 v2, 0x144, v24
	v_lshlrev_b64 v[0:1], 2, v[15:16]
	v_mul_hi_u32 v3, v2, s0
	v_add_co_u32_e32 v0, vcc, v20, v0
	v_addc_co_u32_e32 v1, vcc, v12, v1, vcc
	v_pack_b32_f16 v4, v67, v74
	global_store_dword v[0:1], v4, off
	v_lshrrev_b32_e32 v0, 9, v3
	v_mul_u32_u24_e32 v1, 0x21c, v0
	v_sub_u32_e32 v1, v2, v1
	v_mad_u32_u24 v15, v0, s1, v1
	v_lshlrev_b64 v[0:1], 2, v[15:16]
	v_pack_b32_f16 v2, v32, v37
	v_add_co_u32_e32 v0, vcc, v20, v0
	v_addc_co_u32_e32 v1, vcc, v12, v1, vcc
	global_store_dword v[0:1], v2, off
	v_add_u32_e32 v0, 0x21c, v15
	v_mov_b32_e32 v1, v16
	v_lshlrev_b64 v[0:1], 2, v[0:1]
	v_add_f16_e32 v44, v44, v82
	v_add_co_u32_e32 v0, vcc, v20, v0
	v_addc_co_u32_e32 v1, vcc, v12, v1, vcc
	v_pack_b32_f16 v2, v44, v59
	global_store_dword v[0:1], v2, off
	v_add_u32_e32 v0, 0x438, v15
	v_mov_b32_e32 v1, v16
	v_lshlrev_b64 v[0:1], 2, v[0:1]
	v_pack_b32_f16 v2, v58, v77
	v_add_co_u32_e32 v0, vcc, v20, v0
	v_addc_co_u32_e32 v1, vcc, v12, v1, vcc
	global_store_dword v[0:1], v2, off
	v_add_u32_e32 v0, 0x654, v15
	v_mov_b32_e32 v1, v16
	v_lshlrev_b64 v[0:1], 2, v[0:1]
	v_pack_b32_f16 v2, v61, v40
	v_add_co_u32_e32 v0, vcc, v20, v0
	v_addc_co_u32_e32 v1, vcc, v12, v1, vcc
	;; [unrolled: 7-line block ×3, first 2 shown]
	global_store_dword v[0:1], v2, off
	v_add_u32_e32 v15, 0xa8c, v15
	v_add_u32_e32 v2, 0x1b0, v24
	v_lshlrev_b64 v[0:1], 2, v[15:16]
	v_mul_hi_u32 v3, v2, s0
	v_add_co_u32_e32 v0, vcc, v20, v0
	v_addc_co_u32_e32 v1, vcc, v12, v1, vcc
	v_pack_b32_f16 v4, v73, v81
	global_store_dword v[0:1], v4, off
	v_lshrrev_b32_e32 v0, 9, v3
	v_mul_u32_u24_e32 v1, 0x21c, v0
	v_sub_u32_e32 v1, v2, v1
	v_mad_u32_u24 v15, v0, s1, v1
	v_lshlrev_b64 v[0:1], 2, v[15:16]
	v_pack_b32_f16 v2, v41, v39
	v_add_co_u32_e32 v0, vcc, v20, v0
	v_addc_co_u32_e32 v1, vcc, v12, v1, vcc
	global_store_dword v[0:1], v2, off
	v_add_u32_e32 v0, 0x21c, v15
	v_mov_b32_e32 v1, v16
	v_lshlrev_b64 v[0:1], 2, v[0:1]
	v_pack_b32_f16 v2, v38, v36
	v_add_co_u32_e32 v0, vcc, v20, v0
	v_addc_co_u32_e32 v1, vcc, v12, v1, vcc
	global_store_dword v[0:1], v2, off
	v_add_u32_e32 v0, 0x438, v15
	v_mov_b32_e32 v1, v16
	;; [unrolled: 7-line block ×4, first 2 shown]
	v_lshlrev_b64 v[0:1], 2, v[0:1]
	v_pack_b32_f16 v2, v31, v23
	v_add_co_u32_e32 v0, vcc, v20, v0
	v_addc_co_u32_e32 v1, vcc, v12, v1, vcc
	v_add_u32_e32 v15, 0xa8c, v15
	global_store_dword v[0:1], v2, off
	v_lshlrev_b64 v[0:1], 2, v[15:16]
	v_pack_b32_f16 v2, v22, v19
	v_add_co_u32_e32 v0, vcc, v20, v0
	v_addc_co_u32_e32 v1, vcc, v12, v1, vcc
	global_store_dword v[0:1], v2, off
.LBB0_15:
	s_endpgm
	.section	.rodata,"a",@progbits
	.p2align	6, 0x0
	.amdhsa_kernel fft_rtc_back_len3240_factors_3_3_10_6_6_wgs_108_tpt_108_halfLds_half_op_CI_CI_unitstride_sbrr_dirReg
		.amdhsa_group_segment_fixed_size 0
		.amdhsa_private_segment_fixed_size 0
		.amdhsa_kernarg_size 104
		.amdhsa_user_sgpr_count 6
		.amdhsa_user_sgpr_private_segment_buffer 1
		.amdhsa_user_sgpr_dispatch_ptr 0
		.amdhsa_user_sgpr_queue_ptr 0
		.amdhsa_user_sgpr_kernarg_segment_ptr 1
		.amdhsa_user_sgpr_dispatch_id 0
		.amdhsa_user_sgpr_flat_scratch_init 0
		.amdhsa_user_sgpr_private_segment_size 0
		.amdhsa_uses_dynamic_stack 0
		.amdhsa_system_sgpr_private_segment_wavefront_offset 0
		.amdhsa_system_sgpr_workgroup_id_x 1
		.amdhsa_system_sgpr_workgroup_id_y 0
		.amdhsa_system_sgpr_workgroup_id_z 0
		.amdhsa_system_sgpr_workgroup_info 0
		.amdhsa_system_vgpr_workitem_id 0
		.amdhsa_next_free_vgpr 108
		.amdhsa_next_free_sgpr 28
		.amdhsa_reserve_vcc 1
		.amdhsa_reserve_flat_scratch 0
		.amdhsa_float_round_mode_32 0
		.amdhsa_float_round_mode_16_64 0
		.amdhsa_float_denorm_mode_32 3
		.amdhsa_float_denorm_mode_16_64 3
		.amdhsa_dx10_clamp 1
		.amdhsa_ieee_mode 1
		.amdhsa_fp16_overflow 0
		.amdhsa_exception_fp_ieee_invalid_op 0
		.amdhsa_exception_fp_denorm_src 0
		.amdhsa_exception_fp_ieee_div_zero 0
		.amdhsa_exception_fp_ieee_overflow 0
		.amdhsa_exception_fp_ieee_underflow 0
		.amdhsa_exception_fp_ieee_inexact 0
		.amdhsa_exception_int_div_zero 0
	.end_amdhsa_kernel
	.text
.Lfunc_end0:
	.size	fft_rtc_back_len3240_factors_3_3_10_6_6_wgs_108_tpt_108_halfLds_half_op_CI_CI_unitstride_sbrr_dirReg, .Lfunc_end0-fft_rtc_back_len3240_factors_3_3_10_6_6_wgs_108_tpt_108_halfLds_half_op_CI_CI_unitstride_sbrr_dirReg
                                        ; -- End function
	.section	.AMDGPU.csdata,"",@progbits
; Kernel info:
; codeLenInByte = 18904
; NumSgprs: 32
; NumVgprs: 108
; ScratchSize: 0
; MemoryBound: 0
; FloatMode: 240
; IeeeMode: 1
; LDSByteSize: 0 bytes/workgroup (compile time only)
; SGPRBlocks: 3
; VGPRBlocks: 26
; NumSGPRsForWavesPerEU: 32
; NumVGPRsForWavesPerEU: 108
; Occupancy: 2
; WaveLimiterHint : 1
; COMPUTE_PGM_RSRC2:SCRATCH_EN: 0
; COMPUTE_PGM_RSRC2:USER_SGPR: 6
; COMPUTE_PGM_RSRC2:TRAP_HANDLER: 0
; COMPUTE_PGM_RSRC2:TGID_X_EN: 1
; COMPUTE_PGM_RSRC2:TGID_Y_EN: 0
; COMPUTE_PGM_RSRC2:TGID_Z_EN: 0
; COMPUTE_PGM_RSRC2:TIDIG_COMP_CNT: 0
	.type	__hip_cuid_e071305a70fd9798,@object ; @__hip_cuid_e071305a70fd9798
	.section	.bss,"aw",@nobits
	.globl	__hip_cuid_e071305a70fd9798
__hip_cuid_e071305a70fd9798:
	.byte	0                               ; 0x0
	.size	__hip_cuid_e071305a70fd9798, 1

	.ident	"AMD clang version 19.0.0git (https://github.com/RadeonOpenCompute/llvm-project roc-6.4.0 25133 c7fe45cf4b819c5991fe208aaa96edf142730f1d)"
	.section	".note.GNU-stack","",@progbits
	.addrsig
	.addrsig_sym __hip_cuid_e071305a70fd9798
	.amdgpu_metadata
---
amdhsa.kernels:
  - .args:
      - .actual_access:  read_only
        .address_space:  global
        .offset:         0
        .size:           8
        .value_kind:     global_buffer
      - .offset:         8
        .size:           8
        .value_kind:     by_value
      - .actual_access:  read_only
        .address_space:  global
        .offset:         16
        .size:           8
        .value_kind:     global_buffer
      - .actual_access:  read_only
        .address_space:  global
        .offset:         24
        .size:           8
        .value_kind:     global_buffer
      - .actual_access:  read_only
        .address_space:  global
        .offset:         32
        .size:           8
        .value_kind:     global_buffer
      - .offset:         40
        .size:           8
        .value_kind:     by_value
      - .actual_access:  read_only
        .address_space:  global
        .offset:         48
        .size:           8
        .value_kind:     global_buffer
      - .actual_access:  read_only
        .address_space:  global
        .offset:         56
        .size:           8
        .value_kind:     global_buffer
      - .offset:         64
        .size:           4
        .value_kind:     by_value
      - .actual_access:  read_only
        .address_space:  global
        .offset:         72
        .size:           8
        .value_kind:     global_buffer
      - .actual_access:  read_only
        .address_space:  global
        .offset:         80
        .size:           8
        .value_kind:     global_buffer
      - .actual_access:  read_only
        .address_space:  global
        .offset:         88
        .size:           8
        .value_kind:     global_buffer
      - .actual_access:  write_only
        .address_space:  global
        .offset:         96
        .size:           8
        .value_kind:     global_buffer
    .group_segment_fixed_size: 0
    .kernarg_segment_align: 8
    .kernarg_segment_size: 104
    .language:       OpenCL C
    .language_version:
      - 2
      - 0
    .max_flat_workgroup_size: 108
    .name:           fft_rtc_back_len3240_factors_3_3_10_6_6_wgs_108_tpt_108_halfLds_half_op_CI_CI_unitstride_sbrr_dirReg
    .private_segment_fixed_size: 0
    .sgpr_count:     32
    .sgpr_spill_count: 0
    .symbol:         fft_rtc_back_len3240_factors_3_3_10_6_6_wgs_108_tpt_108_halfLds_half_op_CI_CI_unitstride_sbrr_dirReg.kd
    .uniform_work_group_size: 1
    .uses_dynamic_stack: false
    .vgpr_count:     108
    .vgpr_spill_count: 0
    .wavefront_size: 64
amdhsa.target:   amdgcn-amd-amdhsa--gfx906
amdhsa.version:
  - 1
  - 2
...

	.end_amdgpu_metadata
